;; amdgpu-corpus repo=ROCm/rocFFT kind=compiled arch=gfx906 opt=O3
	.text
	.amdgcn_target "amdgcn-amd-amdhsa--gfx906"
	.amdhsa_code_object_version 6
	.protected	fft_rtc_fwd_len3840_factors_10_6_2_2_2_2_2_2_wgs_128_tpt_128_halfLds_sp_op_CI_CI_unitstride_sbrr_dirReg ; -- Begin function fft_rtc_fwd_len3840_factors_10_6_2_2_2_2_2_2_wgs_128_tpt_128_halfLds_sp_op_CI_CI_unitstride_sbrr_dirReg
	.globl	fft_rtc_fwd_len3840_factors_10_6_2_2_2_2_2_2_wgs_128_tpt_128_halfLds_sp_op_CI_CI_unitstride_sbrr_dirReg
	.p2align	8
	.type	fft_rtc_fwd_len3840_factors_10_6_2_2_2_2_2_2_wgs_128_tpt_128_halfLds_sp_op_CI_CI_unitstride_sbrr_dirReg,@function
fft_rtc_fwd_len3840_factors_10_6_2_2_2_2_2_2_wgs_128_tpt_128_halfLds_sp_op_CI_CI_unitstride_sbrr_dirReg: ; @fft_rtc_fwd_len3840_factors_10_6_2_2_2_2_2_2_wgs_128_tpt_128_halfLds_sp_op_CI_CI_unitstride_sbrr_dirReg
; %bb.0:
	s_load_dwordx4 s[12:15], s[4:5], 0x0
	s_load_dwordx4 s[8:11], s[4:5], 0x58
	;; [unrolled: 1-line block ×3, first 2 shown]
	v_mov_b32_e32 v6, 0
	v_mov_b32_e32 v69, 0
	s_waitcnt lgkmcnt(0)
	v_cmp_lt_u64_e64 s[0:1], s[14:15], 2
	v_mov_b32_e32 v8, s6
	v_mov_b32_e32 v9, v6
	s_and_b64 vcc, exec, s[0:1]
	v_mov_b32_e32 v70, 0
	s_cbranch_vccnz .LBB0_8
; %bb.1:
	s_load_dwordx2 s[0:1], s[4:5], 0x10
	s_add_u32 s2, s18, 8
	s_addc_u32 s3, s19, 0
	s_add_u32 s6, s16, 8
	s_addc_u32 s7, s17, 0
	v_mov_b32_e32 v69, 0
	s_waitcnt lgkmcnt(0)
	s_add_u32 s20, s0, 8
	v_mov_b32_e32 v70, 0
	v_mov_b32_e32 v2, v69
	s_addc_u32 s21, s1, 0
	s_mov_b64 s[22:23], 1
	v_mov_b32_e32 v3, v70
.LBB0_2:                                ; =>This Inner Loop Header: Depth=1
	s_load_dwordx2 s[24:25], s[20:21], 0x0
                                        ; implicit-def: $vgpr4_vgpr5
	s_waitcnt lgkmcnt(0)
	v_or_b32_e32 v7, s25, v9
	v_cmp_ne_u64_e32 vcc, 0, v[6:7]
	s_and_saveexec_b64 s[0:1], vcc
	s_xor_b64 s[26:27], exec, s[0:1]
	s_cbranch_execz .LBB0_4
; %bb.3:                                ;   in Loop: Header=BB0_2 Depth=1
	v_cvt_f32_u32_e32 v1, s24
	v_cvt_f32_u32_e32 v4, s25
	s_sub_u32 s0, 0, s24
	s_subb_u32 s1, 0, s25
	v_mac_f32_e32 v1, 0x4f800000, v4
	v_rcp_f32_e32 v1, v1
	v_mul_f32_e32 v1, 0x5f7ffffc, v1
	v_mul_f32_e32 v4, 0x2f800000, v1
	v_trunc_f32_e32 v4, v4
	v_mac_f32_e32 v1, 0xcf800000, v4
	v_cvt_u32_f32_e32 v4, v4
	v_cvt_u32_f32_e32 v1, v1
	v_mul_lo_u32 v5, s0, v4
	v_mul_hi_u32 v7, s0, v1
	v_mul_lo_u32 v11, s1, v1
	v_mul_lo_u32 v10, s0, v1
	v_add_u32_e32 v5, v7, v5
	v_add_u32_e32 v5, v5, v11
	v_mul_hi_u32 v7, v1, v10
	v_mul_lo_u32 v11, v1, v5
	v_mul_hi_u32 v13, v1, v5
	v_mul_hi_u32 v12, v4, v10
	v_mul_lo_u32 v10, v4, v10
	v_mul_hi_u32 v14, v4, v5
	v_add_co_u32_e32 v7, vcc, v7, v11
	v_addc_co_u32_e32 v11, vcc, 0, v13, vcc
	v_mul_lo_u32 v5, v4, v5
	v_add_co_u32_e32 v7, vcc, v7, v10
	v_addc_co_u32_e32 v7, vcc, v11, v12, vcc
	v_addc_co_u32_e32 v10, vcc, 0, v14, vcc
	v_add_co_u32_e32 v5, vcc, v7, v5
	v_addc_co_u32_e32 v7, vcc, 0, v10, vcc
	v_add_co_u32_e32 v1, vcc, v1, v5
	v_addc_co_u32_e32 v4, vcc, v4, v7, vcc
	v_mul_lo_u32 v5, s0, v4
	v_mul_hi_u32 v7, s0, v1
	v_mul_lo_u32 v10, s1, v1
	v_mul_lo_u32 v11, s0, v1
	v_add_u32_e32 v5, v7, v5
	v_add_u32_e32 v5, v5, v10
	v_mul_lo_u32 v12, v1, v5
	v_mul_hi_u32 v13, v1, v11
	v_mul_hi_u32 v14, v1, v5
	;; [unrolled: 1-line block ×3, first 2 shown]
	v_mul_lo_u32 v11, v4, v11
	v_mul_hi_u32 v7, v4, v5
	v_add_co_u32_e32 v12, vcc, v13, v12
	v_addc_co_u32_e32 v13, vcc, 0, v14, vcc
	v_mul_lo_u32 v5, v4, v5
	v_add_co_u32_e32 v11, vcc, v12, v11
	v_addc_co_u32_e32 v10, vcc, v13, v10, vcc
	v_addc_co_u32_e32 v7, vcc, 0, v7, vcc
	v_add_co_u32_e32 v5, vcc, v10, v5
	v_addc_co_u32_e32 v7, vcc, 0, v7, vcc
	v_add_co_u32_e32 v1, vcc, v1, v5
	v_addc_co_u32_e32 v7, vcc, v4, v7, vcc
	v_mad_u64_u32 v[4:5], s[0:1], v8, v7, 0
	v_mul_hi_u32 v10, v8, v1
	v_add_co_u32_e32 v12, vcc, v10, v4
	v_addc_co_u32_e32 v13, vcc, 0, v5, vcc
	v_mad_u64_u32 v[4:5], s[0:1], v9, v1, 0
	v_mad_u64_u32 v[10:11], s[0:1], v9, v7, 0
	v_add_co_u32_e32 v1, vcc, v12, v4
	v_addc_co_u32_e32 v1, vcc, v13, v5, vcc
	v_addc_co_u32_e32 v4, vcc, 0, v11, vcc
	v_add_co_u32_e32 v1, vcc, v1, v10
	v_addc_co_u32_e32 v7, vcc, 0, v4, vcc
	v_mul_lo_u32 v10, s25, v1
	v_mul_lo_u32 v11, s24, v7
	v_mad_u64_u32 v[4:5], s[0:1], s24, v1, 0
	v_add3_u32 v5, v5, v11, v10
	v_sub_u32_e32 v10, v9, v5
	v_mov_b32_e32 v11, s25
	v_sub_co_u32_e32 v4, vcc, v8, v4
	v_subb_co_u32_e64 v10, s[0:1], v10, v11, vcc
	v_subrev_co_u32_e64 v11, s[0:1], s24, v4
	v_subbrev_co_u32_e64 v10, s[0:1], 0, v10, s[0:1]
	v_cmp_le_u32_e64 s[0:1], s25, v10
	v_cndmask_b32_e64 v12, 0, -1, s[0:1]
	v_cmp_le_u32_e64 s[0:1], s24, v11
	v_cndmask_b32_e64 v11, 0, -1, s[0:1]
	v_cmp_eq_u32_e64 s[0:1], s25, v10
	v_cndmask_b32_e64 v10, v12, v11, s[0:1]
	v_add_co_u32_e64 v11, s[0:1], 2, v1
	v_addc_co_u32_e64 v12, s[0:1], 0, v7, s[0:1]
	v_add_co_u32_e64 v13, s[0:1], 1, v1
	v_addc_co_u32_e64 v14, s[0:1], 0, v7, s[0:1]
	v_subb_co_u32_e32 v5, vcc, v9, v5, vcc
	v_cmp_ne_u32_e64 s[0:1], 0, v10
	v_cmp_le_u32_e32 vcc, s25, v5
	v_cndmask_b32_e64 v10, v14, v12, s[0:1]
	v_cndmask_b32_e64 v12, 0, -1, vcc
	v_cmp_le_u32_e32 vcc, s24, v4
	v_cndmask_b32_e64 v4, 0, -1, vcc
	v_cmp_eq_u32_e32 vcc, s25, v5
	v_cndmask_b32_e32 v4, v12, v4, vcc
	v_cmp_ne_u32_e32 vcc, 0, v4
	v_cndmask_b32_e64 v4, v13, v11, s[0:1]
	v_cndmask_b32_e32 v5, v7, v10, vcc
	v_cndmask_b32_e32 v4, v1, v4, vcc
.LBB0_4:                                ;   in Loop: Header=BB0_2 Depth=1
	s_andn2_saveexec_b64 s[0:1], s[26:27]
	s_cbranch_execz .LBB0_6
; %bb.5:                                ;   in Loop: Header=BB0_2 Depth=1
	v_cvt_f32_u32_e32 v1, s24
	s_sub_i32 s26, 0, s24
	v_rcp_iflag_f32_e32 v1, v1
	v_mul_f32_e32 v1, 0x4f7ffffe, v1
	v_cvt_u32_f32_e32 v1, v1
	v_mul_lo_u32 v4, s26, v1
	v_mul_hi_u32 v4, v1, v4
	v_add_u32_e32 v1, v1, v4
	v_mul_hi_u32 v1, v8, v1
	v_mul_lo_u32 v4, v1, s24
	v_add_u32_e32 v5, 1, v1
	v_sub_u32_e32 v4, v8, v4
	v_subrev_u32_e32 v7, s24, v4
	v_cmp_le_u32_e32 vcc, s24, v4
	v_cndmask_b32_e32 v4, v4, v7, vcc
	v_cndmask_b32_e32 v1, v1, v5, vcc
	v_add_u32_e32 v5, 1, v1
	v_cmp_le_u32_e32 vcc, s24, v4
	v_cndmask_b32_e32 v4, v1, v5, vcc
	v_mov_b32_e32 v5, v6
.LBB0_6:                                ;   in Loop: Header=BB0_2 Depth=1
	s_or_b64 exec, exec, s[0:1]
	v_mul_lo_u32 v1, v5, s24
	v_mul_lo_u32 v7, v4, s25
	v_mad_u64_u32 v[10:11], s[0:1], v4, s24, 0
	s_load_dwordx2 s[0:1], s[6:7], 0x0
	s_load_dwordx2 s[24:25], s[2:3], 0x0
	v_add3_u32 v1, v11, v7, v1
	v_sub_co_u32_e32 v7, vcc, v8, v10
	v_subb_co_u32_e32 v1, vcc, v9, v1, vcc
	s_waitcnt lgkmcnt(0)
	v_mul_lo_u32 v8, s0, v1
	v_mul_lo_u32 v9, s1, v7
	v_mad_u64_u32 v[69:70], s[0:1], s0, v7, v[69:70]
	s_add_u32 s22, s22, 1
	s_addc_u32 s23, s23, 0
	s_add_u32 s2, s2, 8
	v_mul_lo_u32 v1, s24, v1
	v_mul_lo_u32 v10, s25, v7
	v_mad_u64_u32 v[2:3], s[0:1], s24, v7, v[2:3]
	v_add3_u32 v70, v9, v70, v8
	s_addc_u32 s3, s3, 0
	v_mov_b32_e32 v7, s14
	s_add_u32 s6, s6, 8
	v_mov_b32_e32 v8, s15
	s_addc_u32 s7, s7, 0
	v_cmp_ge_u64_e32 vcc, s[22:23], v[7:8]
	s_add_u32 s20, s20, 8
	v_add3_u32 v3, v10, v3, v1
	s_addc_u32 s21, s21, 0
	s_cbranch_vccnz .LBB0_9
; %bb.7:                                ;   in Loop: Header=BB0_2 Depth=1
	v_mov_b32_e32 v9, v5
	v_mov_b32_e32 v8, v4
	s_branch .LBB0_2
.LBB0_8:
	v_mov_b32_e32 v2, v69
	v_mov_b32_e32 v4, v8
	;; [unrolled: 1-line block ×4, first 2 shown]
.LBB0_9:
	s_load_dwordx2 s[0:1], s[4:5], 0x28
	s_lshl_b64 s[6:7], s[14:15], 3
	s_add_u32 s2, s18, s6
	s_addc_u32 s3, s19, s7
                                        ; implicit-def: $vgpr19
                                        ; implicit-def: $vgpr21
                                        ; implicit-def: $vgpr27
                                        ; implicit-def: $vgpr11
                                        ; implicit-def: $vgpr29
                                        ; implicit-def: $vgpr25
                                        ; implicit-def: $vgpr23
                                        ; implicit-def: $vgpr8
                                        ; implicit-def: $vgpr13
                                        ; implicit-def: $vgpr6
                                        ; implicit-def: $vgpr16
                                        ; implicit-def: $vgpr9
                                        ; implicit-def: $vgpr14
                                        ; implicit-def: $vgpr17
	s_waitcnt lgkmcnt(0)
	v_cmp_gt_u64_e32 vcc, s[0:1], v[4:5]
	v_cmp_le_u64_e64 s[0:1], s[0:1], v[4:5]
	s_and_saveexec_b64 s[4:5], s[0:1]
	s_xor_b64 s[0:1], exec, s[4:5]
	s_cbranch_execz .LBB0_11
; %bb.10:
	v_mov_b32_e32 v1, 0
	v_or_b32_e32 v19, 0x80, v0
	v_or_b32_e32 v21, 0x100, v0
	;; [unrolled: 1-line block ×13, first 2 shown]
	v_mov_b32_e32 v20, v1
	v_mov_b32_e32 v22, v1
	;; [unrolled: 1-line block ×6, first 2 shown]
	v_or_b32_e32 v17, 0x700, v0
                                        ; implicit-def: $vgpr69_vgpr70
.LBB0_11:
	s_or_saveexec_b64 s[4:5], s[0:1]
                                        ; implicit-def: $vgpr74
                                        ; implicit-def: $vgpr86
                                        ; implicit-def: $vgpr88
                                        ; implicit-def: $vgpr90
                                        ; implicit-def: $vgpr92
                                        ; implicit-def: $vgpr52
                                        ; implicit-def: $vgpr64
                                        ; implicit-def: $vgpr66
                                        ; implicit-def: $vgpr68
                                        ; implicit-def: $vgpr72
                                        ; implicit-def: $vgpr32
                                        ; implicit-def: $vgpr44
                                        ; implicit-def: $vgpr46
                                        ; implicit-def: $vgpr48
                                        ; implicit-def: $vgpr50
                                        ; implicit-def: $vgpr42
                                        ; implicit-def: $vgpr40
                                        ; implicit-def: $vgpr38
                                        ; implicit-def: $vgpr36
                                        ; implicit-def: $vgpr34
                                        ; implicit-def: $vgpr62
                                        ; implicit-def: $vgpr60
                                        ; implicit-def: $vgpr58
                                        ; implicit-def: $vgpr56
                                        ; implicit-def: $vgpr54
                                        ; implicit-def: $vgpr84
                                        ; implicit-def: $vgpr82
                                        ; implicit-def: $vgpr80
                                        ; implicit-def: $vgpr78
                                        ; implicit-def: $vgpr76
	s_xor_b64 exec, exec, s[4:5]
	s_cbranch_execz .LBB0_13
; %bb.12:
	s_add_u32 s0, s16, s6
	s_addc_u32 s1, s17, s7
	s_load_dwordx2 s[0:1], s[0:1], 0x0
	v_mov_b32_e32 v11, s9
	v_lshlrev_b64 v[8:9], 3, v[69:70]
	v_or_b32_e32 v23, 0x300, v0
	v_or_b32_e32 v25, 0x200, v0
	s_waitcnt lgkmcnt(0)
	v_mul_lo_u32 v1, s1, v4
	v_mul_lo_u32 v10, s0, v5
	v_mad_u64_u32 v[6:7], s[0:1], s0, v4, 0
	v_or_b32_e32 v14, 0x680, v0
	v_or_b32_e32 v27, 0x280, v0
	v_add3_u32 v7, v7, v10, v1
	v_lshlrev_b64 v[6:7], 3, v[6:7]
	v_lshlrev_b32_e32 v10, 3, v0
	v_add_co_u32_e64 v1, s[0:1], s8, v6
	v_addc_co_u32_e64 v6, s[0:1], v11, v7, s[0:1]
	v_add_co_u32_e64 v1, s[0:1], v1, v8
	v_addc_co_u32_e64 v7, s[0:1], v6, v9, s[0:1]
	v_add_co_u32_e64 v18, s[0:1], v1, v10
	v_addc_co_u32_e64 v19, s[0:1], 0, v7, s[0:1]
	v_lshlrev_b32_e32 v6, 3, v23
	v_add_co_u32_e64 v20, s[0:1], v1, v6
	v_or_b32_e32 v6, 0x480, v0
	v_addc_co_u32_e64 v21, s[0:1], 0, v7, s[0:1]
	v_lshlrev_b32_e32 v8, 3, v6
	v_add_co_u32_e64 v28, s[0:1], v1, v8
	v_or_b32_e32 v9, 0x600, v0
	v_addc_co_u32_e64 v29, s[0:1], 0, v7, s[0:1]
	v_lshlrev_b32_e32 v8, 3, v9
	v_add_co_u32_e64 v30, s[0:1], v1, v8
	v_addc_co_u32_e64 v31, s[0:1], 0, v7, s[0:1]
	v_or_b32_e32 v8, 0x3c00, v10
	v_add_co_u32_e64 v32, s[0:1], v1, v8
	v_addc_co_u32_e64 v33, s[0:1], 0, v7, s[0:1]
	v_or_b32_e32 v8, 0x4800, v10
	;; [unrolled: 3-line block ×5, first 2 shown]
	v_add_co_u32_e64 v40, s[0:1], v1, v8
	v_addc_co_u32_e64 v41, s[0:1], 0, v7, s[0:1]
	v_lshlrev_b32_e32 v8, 3, v25
	v_add_co_u32_e64 v42, s[0:1], v1, v8
	v_or_b32_e32 v8, 0x380, v0
	v_addc_co_u32_e64 v43, s[0:1], 0, v7, s[0:1]
	v_lshlrev_b32_e32 v11, 3, v8
	v_add_co_u32_e64 v44, s[0:1], v1, v11
	v_or_b32_e32 v11, 0x500, v0
	v_addc_co_u32_e64 v45, s[0:1], 0, v7, s[0:1]
	v_lshlrev_b32_e32 v12, 3, v11
	v_add_co_u32_e64 v46, s[0:1], v1, v12
	v_addc_co_u32_e64 v47, s[0:1], 0, v7, s[0:1]
	v_lshlrev_b32_e32 v12, 3, v14
	v_add_co_u32_e64 v48, s[0:1], v1, v12
	v_addc_co_u32_e64 v49, s[0:1], 0, v7, s[0:1]
	v_or_b32_e32 v12, 0x4000, v10
	v_add_co_u32_e64 v50, s[0:1], v1, v12
	v_addc_co_u32_e64 v51, s[0:1], 0, v7, s[0:1]
	v_or_b32_e32 v12, 0x4c00, v10
	v_add_co_u32_e64 v61, s[0:1], v1, v12
	v_addc_co_u32_e64 v62, s[0:1], 0, v7, s[0:1]
	v_or_b32_e32 v12, 0x5800, v10
	v_add_co_u32_e64 v69, s[0:1], v1, v12
	v_addc_co_u32_e64 v70, s[0:1], 0, v7, s[0:1]
	v_or_b32_e32 v12, 0x6400, v10
	v_add_co_u32_e64 v93, s[0:1], v1, v12
	v_addc_co_u32_e64 v94, s[0:1], 0, v7, s[0:1]
	v_or_b32_e32 v12, 0x7000, v10
	v_add_co_u32_e64 v95, s[0:1], v1, v12
	v_addc_co_u32_e64 v96, s[0:1], 0, v7, s[0:1]
	v_lshlrev_b32_e32 v12, 3, v27
	v_add_co_u32_e64 v97, s[0:1], v1, v12
	v_or_b32_e32 v13, 0x400, v0
	v_addc_co_u32_e64 v98, s[0:1], 0, v7, s[0:1]
	v_lshlrev_b32_e32 v12, 3, v13
	v_add_co_u32_e64 v99, s[0:1], v1, v12
	v_or_b32_e32 v16, 0x580, v0
	;; [unrolled: 4-line block ×3, first 2 shown]
	v_addc_co_u32_e64 v102, s[0:1], 0, v7, s[0:1]
	v_lshlrev_b32_e32 v12, 3, v17
	v_add_co_u32_e64 v103, s[0:1], v1, v12
	v_addc_co_u32_e64 v104, s[0:1], 0, v7, s[0:1]
	v_or_b32_e32 v12, 0x4400, v10
	v_add_co_u32_e64 v105, s[0:1], v1, v12
	v_addc_co_u32_e64 v106, s[0:1], 0, v7, s[0:1]
	v_or_b32_e32 v12, 0x5000, v10
	;; [unrolled: 3-line block ×5, first 2 shown]
	v_add_co_u32_e64 v113, s[0:1], v1, v10
	v_addc_co_u32_e64 v114, s[0:1], 0, v7, s[0:1]
	global_load_dwordx2 v[85:86], v[20:21], off
	global_load_dwordx2 v[77:78], v[28:29], off
	;; [unrolled: 1-line block ×15, first 2 shown]
                                        ; kill: killed $vgpr32 killed $vgpr33
                                        ; kill: killed $vgpr34 killed $vgpr35
                                        ; kill: killed $vgpr36 killed $vgpr37
                                        ; kill: killed $vgpr42 killed $vgpr43
                                        ; kill: killed $vgpr38 killed $vgpr39
                                        ; kill: killed $vgpr44 killed $vgpr45
                                        ; kill: killed $vgpr40 killed $vgpr41
                                        ; kill: killed $vgpr46 killed $vgpr47
                                        ; kill: killed $vgpr48 killed $vgpr49
                                        ; kill: killed $vgpr50 killed $vgpr51
                                        ; kill: killed $vgpr20 killed $vgpr21
                                        ; kill: killed $vgpr61 killed $vgpr62
                                        ; kill: killed $vgpr28 killed $vgpr29
                                        ; kill: killed $vgpr69 killed $vgpr70
                                        ; kill: killed $vgpr30 killed $vgpr31
	global_load_dwordx2 v[71:72], v[93:94], off
	global_load_dwordx2 v[73:74], v[18:19], off
	s_nop 0
	global_load_dwordx2 v[51:52], v[18:19], off offset:1024
	global_load_dwordx2 v[75:76], v[18:19], off offset:3072
	;; [unrolled: 1-line block ×3, first 2 shown]
	global_load_dwordx2 v[61:62], v[95:96], off
	global_load_dwordx2 v[33:34], v[97:98], off
	;; [unrolled: 1-line block ×10, first 2 shown]
	v_mov_b32_e32 v1, 0
	v_or_b32_e32 v29, 0x180, v0
	v_mov_b32_e32 v30, v1
	v_mov_b32_e32 v24, v1
	v_or_b32_e32 v19, 0x80, v0
	v_mov_b32_e32 v20, v1
	;; [unrolled: 3-line block ×3, first 2 shown]
	v_mov_b32_e32 v28, v1
.LBB0_13:
	s_or_b64 exec, exec, s[4:5]
	s_waitcnt vmcnt(25)
	v_add_f32_e32 v10, v87, v89
	s_waitcnt vmcnt(13)
	v_fma_f32 v10, -0.5, v10, v73
	v_sub_f32_e32 v12, v86, v92
	v_mov_b32_e32 v15, v10
	v_fmac_f32_e32 v15, 0x3f737871, v12
	v_sub_f32_e32 v18, v88, v90
	v_sub_f32_e32 v69, v85, v87
	;; [unrolled: 1-line block ×3, first 2 shown]
	v_fmac_f32_e32 v10, 0xbf737871, v12
	v_fmac_f32_e32 v15, 0x3f167918, v18
	v_add_f32_e32 v69, v69, v70
	v_fmac_f32_e32 v10, 0xbf167918, v18
	v_fmac_f32_e32 v15, 0x3e9e377a, v69
	;; [unrolled: 1-line block ×3, first 2 shown]
	v_add_f32_e32 v69, v85, v91
	v_add_f32_e32 v7, v73, v85
	v_fmac_f32_e32 v73, -0.5, v69
	v_mov_b32_e32 v93, v73
	v_add_f32_e32 v7, v7, v87
	v_fmac_f32_e32 v93, 0xbf737871, v18
	v_sub_f32_e32 v69, v87, v85
	v_sub_f32_e32 v70, v89, v91
	v_fmac_f32_e32 v73, 0x3f737871, v18
	v_add_f32_e32 v18, v88, v90
	v_add_f32_e32 v7, v7, v89
	v_fmac_f32_e32 v93, 0x3f167918, v12
	v_add_f32_e32 v69, v69, v70
	v_fmac_f32_e32 v73, 0xbf167918, v12
	v_fma_f32 v18, -0.5, v18, v74
	v_add_f32_e32 v7, v7, v91
	v_fmac_f32_e32 v93, 0x3e9e377a, v69
	v_fmac_f32_e32 v73, 0x3e9e377a, v69
	v_sub_f32_e32 v69, v85, v91
	v_mov_b32_e32 v91, v18
	v_fmac_f32_e32 v91, 0xbf737871, v69
	v_sub_f32_e32 v70, v87, v89
	v_sub_f32_e32 v85, v86, v88
	;; [unrolled: 1-line block ×3, first 2 shown]
	v_fmac_f32_e32 v18, 0x3f737871, v69
	v_fmac_f32_e32 v91, 0xbf167918, v70
	v_add_f32_e32 v85, v85, v87
	v_fmac_f32_e32 v18, 0x3f167918, v70
	v_fmac_f32_e32 v91, 0x3e9e377a, v85
	;; [unrolled: 1-line block ×3, first 2 shown]
	v_add_f32_e32 v85, v86, v92
	v_add_f32_e32 v12, v74, v86
	v_fmac_f32_e32 v74, -0.5, v85
	v_mov_b32_e32 v94, v74
	v_fmac_f32_e32 v94, 0x3f737871, v70
	v_fmac_f32_e32 v74, 0xbf737871, v70
	;; [unrolled: 1-line block ×4, first 2 shown]
	s_waitcnt vmcnt(11)
	v_add_f32_e32 v69, v77, v75
	v_sub_f32_e32 v85, v88, v86
	v_sub_f32_e32 v86, v90, v92
	v_add_f32_e32 v69, v79, v69
	v_add_f32_e32 v85, v85, v86
	;; [unrolled: 1-line block ×3, first 2 shown]
	v_fmac_f32_e32 v94, 0x3e9e377a, v85
	v_fmac_f32_e32 v74, 0x3e9e377a, v85
	v_add_f32_e32 v85, v83, v69
	v_add_f32_e32 v69, v81, v79
	v_fma_f32 v86, -0.5, v69, v75
	v_sub_f32_e32 v69, v78, v84
	v_mov_b32_e32 v70, v86
	v_add_f32_e32 v12, v12, v88
	v_fmac_f32_e32 v70, 0x3f737871, v69
	v_sub_f32_e32 v87, v80, v82
	v_sub_f32_e32 v88, v77, v79
	;; [unrolled: 1-line block ×3, first 2 shown]
	v_fmac_f32_e32 v86, 0xbf737871, v69
	v_fmac_f32_e32 v70, 0x3f167918, v87
	v_add_f32_e32 v88, v89, v88
	v_fmac_f32_e32 v86, 0xbf167918, v87
	v_fmac_f32_e32 v70, 0x3e9e377a, v88
	;; [unrolled: 1-line block ×3, first 2 shown]
	v_add_f32_e32 v88, v83, v77
	v_fmac_f32_e32 v75, -0.5, v88
	v_mov_b32_e32 v88, v75
	v_fmac_f32_e32 v88, 0xbf737871, v87
	v_fmac_f32_e32 v75, 0x3f737871, v87
	;; [unrolled: 1-line block ×4, first 2 shown]
	v_add_f32_e32 v69, v78, v76
	v_add_f32_e32 v12, v12, v90
	v_sub_f32_e32 v89, v79, v77
	v_sub_f32_e32 v90, v81, v83
	v_add_f32_e32 v69, v80, v69
	v_add_f32_e32 v89, v90, v89
	v_add_f32_e32 v69, v82, v69
	v_fmac_f32_e32 v88, 0x3e9e377a, v89
	v_fmac_f32_e32 v75, 0x3e9e377a, v89
	v_add_f32_e32 v89, v84, v69
	v_add_f32_e32 v69, v82, v80
	v_fma_f32 v87, -0.5, v69, v76
	v_sub_f32_e32 v69, v77, v83
	v_mov_b32_e32 v83, v87
	v_fmac_f32_e32 v83, 0xbf737871, v69
	v_sub_f32_e32 v77, v79, v81
	v_sub_f32_e32 v79, v78, v80
	;; [unrolled: 1-line block ×3, first 2 shown]
	v_fmac_f32_e32 v87, 0x3f737871, v69
	v_fmac_f32_e32 v83, 0xbf167918, v77
	v_add_f32_e32 v79, v81, v79
	v_fmac_f32_e32 v87, 0x3f167918, v77
	v_fmac_f32_e32 v83, 0x3e9e377a, v79
	;; [unrolled: 1-line block ×3, first 2 shown]
	v_add_f32_e32 v79, v84, v78
	v_fmac_f32_e32 v76, -0.5, v79
	v_mov_b32_e32 v90, v76
	v_sub_f32_e32 v78, v80, v78
	v_sub_f32_e32 v79, v82, v84
	v_fmac_f32_e32 v76, 0xbf737871, v77
	v_fmac_f32_e32 v90, 0x3f737871, v77
	v_add_f32_e32 v78, v79, v78
	v_fmac_f32_e32 v76, 0x3f167918, v69
	s_mov_b32 s4, 0x3f737871
	v_fmac_f32_e32 v90, 0xbf167918, v69
	v_fmac_f32_e32 v76, 0x3e9e377a, v78
	v_mul_f32_e32 v69, 0x3e9e377a, v75
	s_mov_b32 s5, 0x3f167918
	v_fma_f32 v96, v76, s4, -v69
	v_mul_f32_e32 v69, 0x3f4f1bbd, v86
	v_fma_f32 v97, v87, s5, -v69
	s_mov_b32 s0, 0xbf737871
	v_add_f32_e32 v12, v12, v92
	v_mul_f32_e32 v92, 0x3f4f1bbd, v70
	v_mul_f32_e32 v95, 0x3e9e377a, v88
	v_add_f32_e32 v81, v10, v97
	v_mul_f32_e32 v99, 0xbf737871, v88
	v_mul_f32_e32 v76, 0x3e9e377a, v76
	v_sub_f32_e32 v88, v10, v97
	v_add_f32_e32 v10, v65, v67
	s_mov_b32 s1, 0xbf167918
	v_fmac_f32_e32 v92, 0x3f167918, v83
	v_mul_f32_e32 v98, 0xbf167918, v70
	v_fma_f32 v100, v75, s0, -v76
	v_mul_f32_e32 v75, 0x3f4f1bbd, v87
	v_fma_f32 v10, -0.5, v10, v51
	v_fmac_f32_e32 v90, 0x3e9e377a, v78
	v_add_f32_e32 v77, v7, v85
	v_add_f32_e32 v78, v15, v92
	;; [unrolled: 1-line block ×3, first 2 shown]
	v_fmac_f32_e32 v98, 0x3f4f1bbd, v83
	v_fma_f32 v101, v86, s1, -v75
	v_sub_f32_e32 v82, v7, v85
	v_sub_f32_e32 v85, v15, v92
	;; [unrolled: 1-line block ×4, first 2 shown]
	v_mov_b32_e32 v15, v10
	v_add_f32_e32 v80, v73, v96
	v_add_f32_e32 v70, v91, v98
	;; [unrolled: 1-line block ×4, first 2 shown]
	v_sub_f32_e32 v87, v73, v96
	v_sub_f32_e32 v89, v91, v98
	;; [unrolled: 1-line block ×4, first 2 shown]
	v_fmac_f32_e32 v15, 0x3f737871, v12
	v_sub_f32_e32 v18, v66, v68
	v_sub_f32_e32 v91, v63, v65
	;; [unrolled: 1-line block ×3, first 2 shown]
	v_fmac_f32_e32 v10, 0xbf737871, v12
	v_fmac_f32_e32 v15, 0x3f167918, v18
	v_add_f32_e32 v91, v91, v92
	v_fmac_f32_e32 v10, 0xbf167918, v18
	v_fmac_f32_e32 v15, 0x3e9e377a, v91
	;; [unrolled: 1-line block ×3, first 2 shown]
	v_add_f32_e32 v91, v63, v71
	v_add_f32_e32 v7, v51, v63
	v_fmac_f32_e32 v51, -0.5, v91
	v_fmac_f32_e32 v95, 0x3f737871, v90
	v_mov_b32_e32 v91, v51
	v_add_f32_e32 v79, v93, v95
	v_sub_f32_e32 v86, v93, v95
	v_fmac_f32_e32 v91, 0xbf737871, v18
	v_sub_f32_e32 v92, v65, v63
	v_sub_f32_e32 v93, v67, v71
	v_fmac_f32_e32 v51, 0x3f737871, v18
	v_add_f32_e32 v18, v66, v68
	v_add_f32_e32 v7, v7, v65
	v_fmac_f32_e32 v91, 0x3f167918, v12
	v_add_f32_e32 v92, v92, v93
	v_fmac_f32_e32 v51, 0xbf167918, v12
	v_fma_f32 v18, -0.5, v18, v52
	v_add_f32_e32 v7, v7, v67
	v_fmac_f32_e32 v91, 0x3e9e377a, v92
	v_fmac_f32_e32 v51, 0x3e9e377a, v92
	v_sub_f32_e32 v63, v63, v71
	v_mov_b32_e32 v92, v18
	v_add_f32_e32 v7, v7, v71
	v_fmac_f32_e32 v92, 0xbf737871, v63
	v_sub_f32_e32 v65, v65, v67
	v_sub_f32_e32 v67, v64, v66
	;; [unrolled: 1-line block ×3, first 2 shown]
	v_fmac_f32_e32 v18, 0x3f737871, v63
	v_fmac_f32_e32 v92, 0xbf167918, v65
	v_add_f32_e32 v67, v67, v71
	v_fmac_f32_e32 v18, 0x3f167918, v65
	v_fmac_f32_e32 v92, 0x3e9e377a, v67
	;; [unrolled: 1-line block ×3, first 2 shown]
	v_add_f32_e32 v67, v64, v72
	v_add_f32_e32 v12, v52, v64
	v_fmac_f32_e32 v52, -0.5, v67
	v_mov_b32_e32 v93, v52
	v_fmac_f32_e32 v93, 0x3f737871, v65
	v_fmac_f32_e32 v52, 0xbf737871, v65
	;; [unrolled: 1-line block ×4, first 2 shown]
	v_add_f32_e32 v63, v55, v53
	v_add_f32_e32 v63, v57, v63
	;; [unrolled: 1-line block ×4, first 2 shown]
	v_sub_f32_e32 v64, v66, v64
	v_sub_f32_e32 v66, v68, v72
	s_waitcnt vmcnt(9)
	v_add_f32_e32 v65, v61, v63
	v_add_f32_e32 v63, v59, v57
	;; [unrolled: 1-line block ×3, first 2 shown]
	v_fma_f32 v66, -0.5, v63, v53
	v_fmac_f32_e32 v93, 0x3e9e377a, v64
	v_fmac_f32_e32 v52, 0x3e9e377a, v64
	v_sub_f32_e32 v63, v56, v62
	v_mov_b32_e32 v64, v66
	v_add_f32_e32 v12, v12, v68
	v_fmac_f32_e32 v64, 0x3f737871, v63
	v_sub_f32_e32 v67, v58, v60
	v_sub_f32_e32 v68, v55, v57
	;; [unrolled: 1-line block ×3, first 2 shown]
	v_fmac_f32_e32 v66, 0xbf737871, v63
	v_fmac_f32_e32 v64, 0x3f167918, v67
	v_add_f32_e32 v68, v71, v68
	v_fmac_f32_e32 v66, 0xbf167918, v67
	v_fmac_f32_e32 v64, 0x3e9e377a, v68
	;; [unrolled: 1-line block ×3, first 2 shown]
	v_add_f32_e32 v68, v61, v55
	v_fmac_f32_e32 v53, -0.5, v68
	v_mov_b32_e32 v68, v53
	v_fmac_f32_e32 v68, 0xbf737871, v67
	v_fmac_f32_e32 v53, 0x3f737871, v67
	;; [unrolled: 1-line block ×4, first 2 shown]
	v_add_f32_e32 v63, v56, v54
	v_add_f32_e32 v63, v58, v63
	v_add_f32_e32 v12, v12, v72
	v_sub_f32_e32 v71, v57, v55
	v_sub_f32_e32 v72, v59, v61
	v_add_f32_e32 v63, v60, v63
	v_add_f32_e32 v71, v72, v71
	;; [unrolled: 1-line block ×4, first 2 shown]
	v_fmac_f32_e32 v68, 0x3e9e377a, v71
	v_fmac_f32_e32 v53, 0x3e9e377a, v71
	v_fma_f32 v71, -0.5, v63, v54
	v_sub_f32_e32 v55, v55, v61
	v_mov_b32_e32 v61, v71
	v_fmac_f32_e32 v61, 0xbf737871, v55
	v_sub_f32_e32 v57, v57, v59
	v_sub_f32_e32 v59, v56, v58
	;; [unrolled: 1-line block ×3, first 2 shown]
	v_fmac_f32_e32 v71, 0x3f737871, v55
	v_fmac_f32_e32 v61, 0xbf167918, v57
	v_add_f32_e32 v59, v63, v59
	v_fmac_f32_e32 v71, 0x3f167918, v57
	v_fmac_f32_e32 v61, 0x3e9e377a, v59
	;; [unrolled: 1-line block ×3, first 2 shown]
	v_add_f32_e32 v59, v62, v56
	v_fmac_f32_e32 v54, -0.5, v59
	v_mov_b32_e32 v67, v54
	v_sub_f32_e32 v56, v58, v56
	v_sub_f32_e32 v58, v60, v62
	v_fmac_f32_e32 v54, 0xbf737871, v57
	v_add_f32_e32 v56, v58, v56
	v_fmac_f32_e32 v54, 0x3f167918, v55
	v_fmac_f32_e32 v54, 0x3e9e377a, v56
	v_mul_f32_e32 v58, 0x3e9e377a, v53
	v_fmac_f32_e32 v99, 0x3e9e377a, v90
	v_fmac_f32_e32 v67, 0x3f737871, v57
	v_mul_f32_e32 v62, 0x3f4f1bbd, v64
	v_fma_f32 v95, v54, s4, -v58
	v_mul_f32_e32 v59, 0x3f4f1bbd, v66
	v_mul_f32_e32 v54, 0x3e9e377a, v54
	v_add_f32_e32 v83, v94, v99
	v_sub_f32_e32 v90, v94, v99
	v_fmac_f32_e32 v67, 0xbf167918, v55
	v_fmac_f32_e32 v62, 0x3f167918, v61
	v_fma_f32 v96, v71, s5, -v59
	v_fma_f32 v99, v53, s0, -v54
	v_mul_f32_e32 v53, 0x3f4f1bbd, v71
	v_fmac_f32_e32 v67, 0x3e9e377a, v56
	v_add_f32_e32 v56, v15, v62
	v_add_f32_e32 v59, v10, v96
	v_fma_f32 v66, v66, s1, -v53
	v_sub_f32_e32 v53, v15, v62
	v_sub_f32_e32 v62, v10, v96
	s_waitcnt vmcnt(3)
	v_add_f32_e32 v10, v45, v47
	v_mul_f32_e32 v94, 0x3e9e377a, v68
	v_mul_f32_e32 v97, 0xbf167918, v64
	;; [unrolled: 1-line block ×3, first 2 shown]
	v_fma_f32 v10, -0.5, v10, v31
	v_fmac_f32_e32 v94, 0x3f737871, v67
	v_add_f32_e32 v63, v12, v72
	v_fmac_f32_e32 v97, 0x3f4f1bbd, v61
	v_fmac_f32_e32 v98, 0x3e9e377a, v67
	v_sub_f32_e32 v72, v12, v72
	s_waitcnt vmcnt(1)
	v_sub_f32_e32 v12, v44, v50
	v_mov_b32_e32 v15, v10
	v_add_f32_e32 v57, v91, v94
	v_add_f32_e32 v58, v51, v95
	;; [unrolled: 1-line block ×6, first 2 shown]
	v_sub_f32_e32 v54, v91, v94
	v_sub_f32_e32 v61, v51, v95
	v_sub_f32_e32 v91, v92, v97
	v_sub_f32_e32 v92, v93, v98
	v_sub_f32_e32 v93, v52, v99
	v_sub_f32_e32 v94, v18, v66
	v_fmac_f32_e32 v15, 0x3f737871, v12
	v_sub_f32_e32 v18, v46, v48
	v_sub_f32_e32 v51, v43, v45
	;; [unrolled: 1-line block ×3, first 2 shown]
	v_fmac_f32_e32 v10, 0xbf737871, v12
	v_fmac_f32_e32 v15, 0x3f167918, v18
	v_add_f32_e32 v51, v51, v52
	v_fmac_f32_e32 v10, 0xbf167918, v18
	v_fmac_f32_e32 v15, 0x3e9e377a, v51
	;; [unrolled: 1-line block ×3, first 2 shown]
	v_add_f32_e32 v51, v43, v49
	v_add_f32_e32 v55, v7, v65
	v_sub_f32_e32 v60, v7, v65
	v_add_f32_e32 v7, v31, v43
	v_fmac_f32_e32 v31, -0.5, v51
	v_mov_b32_e32 v51, v31
	v_add_f32_e32 v7, v7, v45
	v_fmac_f32_e32 v51, 0xbf737871, v18
	v_fmac_f32_e32 v31, 0x3f737871, v18
	v_add_f32_e32 v18, v46, v48
	v_add_f32_e32 v7, v7, v47
	v_sub_f32_e32 v52, v45, v43
	v_sub_f32_e32 v65, v47, v49
	v_fma_f32 v18, -0.5, v18, v32
	v_add_f32_e32 v7, v7, v49
	v_fmac_f32_e32 v51, 0x3f167918, v12
	v_add_f32_e32 v52, v52, v65
	v_fmac_f32_e32 v31, 0xbf167918, v12
	v_sub_f32_e32 v43, v43, v49
	v_mov_b32_e32 v49, v18
	v_fmac_f32_e32 v51, 0x3e9e377a, v52
	v_fmac_f32_e32 v31, 0x3e9e377a, v52
	;; [unrolled: 1-line block ×3, first 2 shown]
	v_sub_f32_e32 v45, v45, v47
	v_sub_f32_e32 v47, v44, v46
	v_sub_f32_e32 v52, v50, v48
	v_fmac_f32_e32 v18, 0x3f737871, v43
	v_fmac_f32_e32 v49, 0xbf167918, v45
	v_add_f32_e32 v47, v47, v52
	v_fmac_f32_e32 v18, 0x3f167918, v45
	v_fmac_f32_e32 v49, 0x3e9e377a, v47
	;; [unrolled: 1-line block ×3, first 2 shown]
	v_add_f32_e32 v47, v44, v50
	v_add_f32_e32 v12, v32, v44
	v_fmac_f32_e32 v32, -0.5, v47
	v_mov_b32_e32 v47, v32
	v_add_f32_e32 v12, v12, v46
	v_fmac_f32_e32 v47, 0x3f737871, v45
	v_sub_f32_e32 v44, v46, v44
	v_sub_f32_e32 v46, v48, v50
	v_fmac_f32_e32 v32, 0xbf737871, v45
	v_fmac_f32_e32 v47, 0xbf167918, v43
	v_add_f32_e32 v44, v44, v46
	v_fmac_f32_e32 v32, 0x3f167918, v43
	v_fmac_f32_e32 v47, 0x3e9e377a, v44
	;; [unrolled: 1-line block ×3, first 2 shown]
	v_add_f32_e32 v44, v39, v37
	v_fma_f32 v44, -0.5, v44, v33
	v_add_f32_e32 v12, v12, v48
	s_waitcnt vmcnt(0)
	v_sub_f32_e32 v45, v36, v42
	v_mov_b32_e32 v46, v44
	v_add_f32_e32 v12, v12, v50
	v_fmac_f32_e32 v46, 0x3f737871, v45
	v_sub_f32_e32 v48, v38, v40
	v_sub_f32_e32 v50, v35, v37
	;; [unrolled: 1-line block ×3, first 2 shown]
	v_fmac_f32_e32 v44, 0xbf737871, v45
	v_fmac_f32_e32 v46, 0x3f167918, v48
	v_add_f32_e32 v50, v52, v50
	v_fmac_f32_e32 v44, 0xbf167918, v48
	v_fmac_f32_e32 v46, 0x3e9e377a, v50
	;; [unrolled: 1-line block ×3, first 2 shown]
	v_add_f32_e32 v50, v41, v35
	v_add_f32_e32 v43, v35, v33
	v_fmac_f32_e32 v33, -0.5, v50
	v_mov_b32_e32 v50, v33
	v_add_f32_e32 v43, v37, v43
	v_fmac_f32_e32 v50, 0xbf737871, v48
	v_fmac_f32_e32 v33, 0x3f737871, v48
	v_add_f32_e32 v48, v40, v38
	v_add_f32_e32 v43, v39, v43
	v_sub_f32_e32 v52, v37, v35
	v_sub_f32_e32 v65, v39, v41
	v_fma_f32 v48, -0.5, v48, v34
	v_add_f32_e32 v43, v41, v43
	v_fmac_f32_e32 v50, 0x3f167918, v45
	v_add_f32_e32 v52, v65, v52
	v_fmac_f32_e32 v33, 0xbf167918, v45
	v_sub_f32_e32 v35, v35, v41
	v_mov_b32_e32 v41, v48
	v_fmac_f32_e32 v50, 0x3e9e377a, v52
	v_fmac_f32_e32 v33, 0x3e9e377a, v52
	;; [unrolled: 1-line block ×3, first 2 shown]
	v_sub_f32_e32 v37, v37, v39
	v_sub_f32_e32 v39, v36, v38
	;; [unrolled: 1-line block ×3, first 2 shown]
	v_fmac_f32_e32 v48, 0x3f737871, v35
	v_fmac_f32_e32 v41, 0xbf167918, v37
	v_add_f32_e32 v39, v52, v39
	v_fmac_f32_e32 v48, 0x3f167918, v37
	v_fmac_f32_e32 v41, 0x3e9e377a, v39
	;; [unrolled: 1-line block ×3, first 2 shown]
	v_add_f32_e32 v39, v42, v36
	v_add_f32_e32 v45, v36, v34
	v_fmac_f32_e32 v34, -0.5, v39
	v_add_f32_e32 v45, v38, v45
	v_mov_b32_e32 v52, v34
	v_sub_f32_e32 v36, v38, v36
	v_sub_f32_e32 v38, v40, v42
	v_fmac_f32_e32 v34, 0xbf737871, v37
	v_fmac_f32_e32 v52, 0x3f737871, v37
	v_add_f32_e32 v36, v38, v36
	v_fmac_f32_e32 v34, 0x3f167918, v35
	v_add_f32_e32 v45, v40, v45
	v_fmac_f32_e32 v52, 0xbf167918, v35
	v_fmac_f32_e32 v34, 0x3e9e377a, v36
	v_mul_f32_e32 v38, 0x3e9e377a, v33
	v_add_f32_e32 v45, v42, v45
	v_fmac_f32_e32 v52, 0x3e9e377a, v36
	v_mul_f32_e32 v42, 0x3f4f1bbd, v46
	v_mul_f32_e32 v65, 0x3e9e377a, v50
	v_fma_f32 v66, v34, s4, -v38
	v_mul_f32_e32 v50, 0xbf737871, v50
	v_mul_f32_e32 v34, 0x3e9e377a, v34
	v_add_f32_e32 v35, v7, v43
	v_fmac_f32_e32 v42, 0x3f167918, v41
	v_fmac_f32_e32 v65, 0x3f737871, v52
	;; [unrolled: 1-line block ×3, first 2 shown]
	v_fma_f32 v52, v33, s0, -v34
	v_mul_f32_e32 v33, 0x3f4f1bbd, v48
	v_sub_f32_e32 v40, v7, v43
	v_mul_u32_u24_e32 v7, 10, v0
	v_add_f32_e32 v36, v15, v42
	v_mul_f32_e32 v39, 0x3f4f1bbd, v44
	v_fma_f32 v44, v44, s1, -v33
	v_sub_f32_e32 v33, v15, v42
	v_lshl_add_u32 v15, v7, 2, 0
	v_mul_i32_i24_e32 v7, 10, v19
	v_add_f32_e32 v37, v51, v65
	v_sub_f32_e32 v34, v51, v65
	v_lshl_add_u32 v51, v7, 2, 0
	v_mul_i32_i24_e32 v7, 10, v21
	v_fma_f32 v100, v48, s5, -v39
	v_mul_f32_e32 v46, 0xbf167918, v46
	v_add_f32_e32 v98, v32, v52
	v_sub_f32_e32 v103, v32, v52
	v_lshl_add_u32 v52, v7, 2, 0
	s_movk_i32 s0, 0xffdc
	s_load_dwordx2 s[2:3], s[2:3], 0x0
	v_add_f32_e32 v38, v31, v66
	v_add_f32_e32 v39, v10, v100
	v_fmac_f32_e32 v46, 0x3f4f1bbd, v41
	v_sub_f32_e32 v41, v31, v66
	v_sub_f32_e32 v42, v10, v100
	ds_write2_b64 v15, v[77:78], v[79:80] offset1:1
	ds_write2_b64 v15, v[81:82], v[85:86] offset0:2 offset1:3
	ds_write_b64 v15, v[87:88] offset:32
	ds_write2_b64 v51, v[55:56], v[57:58] offset1:1
	ds_write2_b64 v51, v[59:60], v[53:54] offset0:2 offset1:3
	ds_write_b64 v51, v[61:62] offset:32
	v_mad_i32_i24 v53, v0, s0, v15
	v_lshl_add_u32 v54, v27, 2, 0
	v_mad_i32_i24 v7, v19, s0, v51
	v_mad_i32_i24 v10, v21, s0, v52
	s_movk_i32 s0, 0xcd
	v_add_f32_e32 v95, v12, v45
	v_add_f32_e32 v96, v49, v46
	;; [unrolled: 1-line block ×4, first 2 shown]
	v_sub_f32_e32 v100, v12, v45
	v_sub_f32_e32 v101, v49, v46
	;; [unrolled: 1-line block ×4, first 2 shown]
	ds_write2_b64 v52, v[35:36], v[37:38] offset1:1
	ds_write2_b64 v52, v[39:40], v[33:34] offset0:2 offset1:3
	ds_write_b64 v52, v[41:42] offset:32
	s_waitcnt lgkmcnt(0)
	s_barrier
	ds_read2st64_b32 v[31:32], v53 offset1:12
	v_lshl_add_u32 v57, v11, 2, 0
	ds_read2st64_b32 v[45:46], v53 offset0:28 offset1:30
	ds_read2st64_b32 v[49:50], v53 offset0:40 offset1:42
	;; [unrolled: 1-line block ×9, first 2 shown]
	v_lshl_add_u32 v55, v29, 2, 0
	ds_read_b32 v126, v54
	ds_read_b32 v127, v57
	;; [unrolled: 1-line block ×3, first 2 shown]
	ds_read2st64_b32 v[37:38], v53 offset0:36 offset1:38
	ds_read2st64_b32 v[33:34], v53 offset0:56 offset1:58
	v_lshl_add_u32 v56, v25, 2, 0
	ds_read_b32 v62, v10
	ds_read_b32 v66, v7
	;; [unrolled: 1-line block ×3, first 2 shown]
	s_waitcnt lgkmcnt(0)
	s_barrier
	ds_write2_b64 v15, v[69:70], v[83:84] offset1:1
	ds_write2_b64 v15, v[75:76], v[89:90] offset0:2 offset1:3
	ds_write_b64 v15, v[73:74] offset:32
	ds_write2_b64 v51, v[63:64], v[67:68] offset1:1
	ds_write2_b64 v51, v[71:72], v[91:92] offset0:2 offset1:3
	ds_write_b64 v51, v[93:94] offset:32
	;; [unrolled: 3-line block ×3, first 2 shown]
	v_mul_lo_u16_sdwa v15, v0, s0 dst_sel:DWORD dst_unused:UNUSED_PAD src0_sel:BYTE_0 src1_sel:DWORD
	v_lshrrev_b16_e32 v15, 11, v15
	v_mul_lo_u16_e32 v18, 10, v15
	v_sub_u16_e32 v18, v0, v18
	v_mov_b32_e32 v61, 5
	v_mul_u32_u24_sdwa v59, v18, v61 dst_sel:DWORD dst_unused:UNUSED_PAD src0_sel:BYTE_0 src1_sel:DWORD
	v_lshlrev_b32_e32 v128, 3, v59
	s_waitcnt lgkmcnt(0)
	s_barrier
	global_load_dwordx4 v[70:73], v128, s[12:13]
	global_load_dwordx4 v[74:77], v128, s[12:13] offset:16
	v_mul_lo_u16_sdwa v59, v19, s0 dst_sel:DWORD dst_unused:UNUSED_PAD src0_sel:BYTE_0 src1_sel:DWORD
	v_lshrrev_b16_e32 v59, 11, v59
	v_mul_lo_u16_e32 v60, 10, v59
	v_sub_u16_e32 v60, v19, v60
	v_mul_u32_u24_sdwa v61, v60, v61 dst_sel:DWORD dst_unused:UNUSED_PAD src0_sel:BYTE_0 src1_sel:DWORD
	v_lshlrev_b32_e32 v69, 3, v61
	global_load_dwordx4 v[78:81], v69, s[12:13]
	global_load_dwordx4 v[90:93], v69, s[12:13] offset:16
	s_mov_b32 s0, 0xcccd
	v_mul_u32_u24_sdwa v61, v21, s0 dst_sel:DWORD dst_unused:UNUSED_PAD src0_sel:WORD_0 src1_sel:DWORD
	v_lshrrev_b32_e32 v61, 19, v61
	v_mul_lo_u16_e32 v63, 10, v61
	v_sub_u16_e32 v63, v21, v63
	v_mul_u32_u24_e32 v64, 5, v63
	v_lshlrev_b32_e32 v102, 3, v64
	v_mul_u32_u24_sdwa v64, v29, s0 dst_sel:DWORD dst_unused:UNUSED_PAD src0_sel:WORD_0 src1_sel:DWORD
	v_lshrrev_b32_e32 v64, 19, v64
	v_mul_lo_u16_e32 v65, 10, v64
	v_sub_u16_e32 v65, v29, v65
	v_mul_u32_u24_e32 v67, 5, v65
	global_load_dwordx4 v[82:85], v102, s[12:13]
	v_lshlrev_b32_e32 v129, 3, v67
	global_load_dwordx4 v[86:89], v129, s[12:13]
	v_mul_u32_u24_sdwa v67, v25, s0 dst_sel:DWORD dst_unused:UNUSED_PAD src0_sel:WORD_0 src1_sel:DWORD
	v_lshrrev_b32_e32 v67, 19, v67
	v_mul_lo_u16_e32 v68, 10, v67
	v_sub_u16_e32 v68, v25, v68
	v_mul_u32_u24_e32 v94, 5, v68
	v_lshlrev_b32_e32 v130, 3, v94
	global_load_dwordx4 v[94:97], v130, s[12:13]
	global_load_dwordx2 v[110:111], v69, s[12:13] offset:32
	ds_read2st64_b32 v[112:113], v53 offset1:12
	ds_read2st64_b32 v[114:115], v53 offset0:28 offset1:30
	global_load_dwordx4 v[98:101], v102, s[12:13] offset:16
	ds_read2st64_b32 v[116:117], v53 offset0:40 offset1:42
	ds_read2st64_b32 v[118:119], v53 offset0:18 offset1:22
	ds_read2st64_b32 v[120:121], v53 offset0:14 offset1:16
	ds_read2st64_b32 v[122:123], v53 offset0:24 offset1:26
	global_load_dwordx2 v[124:125], v102, s[12:13] offset:32
	ds_read_b32 v131, v54
	ds_read_b32 v132, v57
	;; [unrolled: 1-line block ×6, first 2 shown]
	global_load_dwordx4 v[102:105], v129, s[12:13] offset:16
	v_mul_u32_u24_e32 v15, 0xf0, v15
	s_movk_i32 s0, 0x89
	s_mov_b32 s1, 0x8889
	s_movk_i32 s4, 0xf0
	s_movk_i32 s5, 0x1000
	;; [unrolled: 1-line block ×3, first 2 shown]
	s_waitcnt vmcnt(10) lgkmcnt(5)
	v_mul_f32_e32 v136, v131, v71
	v_mul_f32_e32 v137, v126, v71
	v_fma_f32 v136, v126, v70, -v136
	v_fmac_f32_e32 v137, v131, v70
	s_waitcnt lgkmcnt(4)
	v_mul_f32_e32 v70, v132, v73
	v_fma_f32 v131, v127, v72, -v70
	v_mul_f32_e32 v138, v127, v73
	global_load_dwordx2 v[126:127], v128, s[12:13] offset:32
	s_waitcnt vmcnt(10)
	v_mul_f32_e32 v70, v115, v75
	v_mul_f32_e32 v128, v46, v75
	v_fmac_f32_e32 v138, v132, v72
	v_fma_f32 v132, v46, v74, -v70
	v_fmac_f32_e32 v128, v115, v74
	global_load_dwordx2 v[74:75], v129, s[12:13] offset:32
	global_load_dwordx4 v[70:73], v130, s[12:13] offset:16
	v_mul_f32_e32 v46, v116, v77
	v_fma_f32 v115, v49, v76, -v46
	v_mul_f32_e32 v129, v49, v77
	s_waitcnt vmcnt(11)
	v_mul_f32_e32 v46, v113, v79
	v_fmac_f32_e32 v129, v116, v76
	v_fma_f32 v116, v32, v78, -v46
	v_mul_f32_e32 v32, v32, v79
	v_mul_f32_e32 v46, v119, v81
	v_fmac_f32_e32 v32, v113, v78
	v_fma_f32 v78, v48, v80, -v46
	v_mul_f32_e32 v79, v48, v81
	global_load_dwordx2 v[48:49], v130, s[12:13] offset:32
	s_waitcnt vmcnt(10)
	v_mul_f32_e32 v46, v120, v83
	v_fmac_f32_e32 v79, v119, v80
	v_fma_f32 v80, v106, v82, -v46
	v_mul_f32_e32 v81, v106, v83
	v_mul_f32_e32 v46, v122, v85
	v_fmac_f32_e32 v81, v120, v82
	v_fma_f32 v82, v108, v84, -v46
	v_mul_f32_e32 v83, v108, v85
	s_waitcnt vmcnt(9)
	v_mul_f32_e32 v46, v121, v87
	v_fmac_f32_e32 v83, v122, v84
	v_fma_f32 v84, v107, v86, -v46
	v_mul_f32_e32 v85, v107, v87
	v_mul_f32_e32 v46, v123, v89
	v_fmac_f32_e32 v85, v121, v86
	v_fma_f32 v86, v109, v88, -v46
	v_mul_f32_e32 v87, v109, v89
	;; [unrolled: 4-line block ×3, first 2 shown]
	s_waitcnt vmcnt(8)
	v_mul_f32_e32 v46, v118, v95
	v_fmac_f32_e32 v50, v117, v92
	v_fma_f32 v89, v47, v94, -v46
	v_mul_f32_e32 v92, v47, v95
	ds_read2st64_b32 v[46:47], v53 offset0:32 offset1:34
	v_mul_f32_e32 v76, v114, v97
	v_fma_f32 v93, v45, v96, -v76
	ds_read2st64_b32 v[76:77], v53 offset0:52 offset1:54
	v_fmac_f32_e32 v92, v118, v94
	v_mul_f32_e32 v94, v45, v97
	s_waitcnt lgkmcnt(1)
	v_mul_f32_e32 v45, v46, v91
	v_mul_f32_e32 v91, v43, v91
	v_fma_f32 v95, v43, v90, -v45
	v_fmac_f32_e32 v91, v46, v90
	ds_read2st64_b32 v[45:46], v53 offset0:44 offset1:46
	s_waitcnt vmcnt(7) lgkmcnt(1)
	v_mul_f32_e32 v43, v76, v111
	v_fmac_f32_e32 v94, v114, v96
	v_fma_f32 v90, v41, v110, -v43
	v_mul_f32_e32 v96, v41, v111
	s_waitcnt vmcnt(6)
	v_mul_f32_e32 v41, v47, v99
	v_fmac_f32_e32 v96, v76, v110
	v_fma_f32 v76, v44, v98, -v41
	v_mul_f32_e32 v97, v44, v99
	s_waitcnt lgkmcnt(0)
	v_mul_f32_e32 v41, v45, v101
	v_fmac_f32_e32 v97, v47, v98
	v_fma_f32 v47, v39, v100, -v41
	v_mul_f32_e32 v98, v39, v101
	s_waitcnt vmcnt(5)
	v_mul_f32_e32 v39, v77, v125
	v_fmac_f32_e32 v98, v45, v100
	v_fma_f32 v45, v42, v124, -v39
	v_mul_f32_e32 v99, v42, v125
	ds_read2st64_b32 v[41:42], v53 offset0:36 offset1:38
	s_waitcnt vmcnt(4)
	v_mul_f32_e32 v39, v46, v105
	v_fmac_f32_e32 v99, v77, v124
	v_fma_f32 v77, v40, v104, -v39
	v_mul_f32_e32 v100, v40, v105
	ds_read2st64_b32 v[39:40], v53 offset0:48 offset1:50
	s_waitcnt lgkmcnt(1)
	v_mul_f32_e32 v43, v41, v103
	v_fmac_f32_e32 v100, v46, v104
	v_fma_f32 v46, v37, v102, -v43
	ds_read2st64_b32 v[43:44], v53 offset0:56 offset1:58
	v_mul_f32_e32 v37, v37, v103
	v_fmac_f32_e32 v37, v41, v102
	s_waitcnt vmcnt(3) lgkmcnt(1)
	v_mul_f32_e32 v41, v40, v127
	v_fma_f32 v41, v36, v126, -v41
	v_mul_f32_e32 v36, v36, v127
	v_fmac_f32_e32 v36, v40, v126
	s_waitcnt vmcnt(2) lgkmcnt(0)
	v_mul_f32_e32 v40, v43, v75
	v_fma_f32 v40, v33, v74, -v40
	v_mul_f32_e32 v33, v33, v75
	v_fmac_f32_e32 v33, v43, v74
	s_waitcnt vmcnt(1)
	v_mul_f32_e32 v43, v42, v71
	v_fma_f32 v43, v38, v70, -v43
	v_mul_f32_e32 v38, v38, v71
	v_fmac_f32_e32 v38, v42, v70
	v_mul_f32_e32 v42, v39, v73
	v_fma_f32 v42, v35, v72, -v42
	v_mul_f32_e32 v35, v35, v73
	v_fmac_f32_e32 v35, v39, v72
	s_waitcnt vmcnt(0)
	v_mul_f32_e32 v39, v44, v49
	v_fma_f32 v39, v34, v48, -v39
	v_mul_f32_e32 v34, v34, v49
	v_fmac_f32_e32 v34, v44, v48
	v_add_f32_e32 v48, v131, v115
	v_add_f32_e32 v44, v31, v131
	v_fmac_f32_e32 v31, -0.5, v48
	v_sub_f32_e32 v48, v138, v129
	v_mov_b32_e32 v49, v31
	v_add_f32_e32 v70, v138, v129
	v_fmac_f32_e32 v49, 0x3f5db3d7, v48
	v_fmac_f32_e32 v31, 0xbf5db3d7, v48
	v_add_f32_e32 v48, v112, v138
	v_fmac_f32_e32 v112, -0.5, v70
	v_sub_f32_e32 v70, v131, v115
	v_mov_b32_e32 v71, v112
	v_add_f32_e32 v72, v132, v41
	v_fmac_f32_e32 v71, 0xbf5db3d7, v70
	v_fmac_f32_e32 v112, 0x3f5db3d7, v70
	v_add_f32_e32 v70, v136, v132
	v_fmac_f32_e32 v136, -0.5, v72
	v_sub_f32_e32 v72, v128, v36
	v_mov_b32_e32 v73, v136
	v_fmac_f32_e32 v73, 0x3f5db3d7, v72
	v_fmac_f32_e32 v136, 0xbf5db3d7, v72
	v_add_f32_e32 v72, v137, v128
	v_add_f32_e32 v72, v72, v36
	;; [unrolled: 1-line block ×3, first 2 shown]
	v_fmac_f32_e32 v137, -0.5, v36
	v_add_f32_e32 v70, v70, v41
	v_sub_f32_e32 v36, v132, v41
	v_mov_b32_e32 v41, v137
	v_fmac_f32_e32 v41, 0xbf5db3d7, v36
	v_add_f32_e32 v44, v44, v115
	v_fmac_f32_e32 v137, 0x3f5db3d7, v36
	v_mul_f32_e32 v74, 0x3f5db3d7, v41
	v_mul_f32_e32 v101, -0.5, v136
	v_add_f32_e32 v48, v48, v129
	v_add_f32_e32 v36, v44, v70
	v_fmac_f32_e32 v74, 0.5, v73
	v_fmac_f32_e32 v101, 0x3f5db3d7, v137
	v_mul_f32_e32 v73, 0xbf5db3d7, v73
	v_sub_f32_e32 v44, v44, v70
	v_add_f32_e32 v70, v78, v88
	v_add_f32_e32 v102, v31, v101
	;; [unrolled: 1-line block ×3, first 2 shown]
	v_fmac_f32_e32 v73, 0.5, v41
	v_sub_f32_e32 v31, v31, v101
	v_sub_f32_e32 v101, v48, v72
	v_add_f32_e32 v48, v66, v78
	v_fmac_f32_e32 v66, -0.5, v70
	v_add_f32_e32 v41, v71, v73
	v_sub_f32_e32 v106, v71, v73
	v_sub_f32_e32 v70, v79, v50
	v_mov_b32_e32 v71, v66
	v_fmac_f32_e32 v71, 0x3f5db3d7, v70
	v_fmac_f32_e32 v66, 0xbf5db3d7, v70
	v_add_f32_e32 v70, v135, v79
	v_add_f32_e32 v70, v70, v50
	;; [unrolled: 1-line block ×3, first 2 shown]
	v_fmac_f32_e32 v135, -0.5, v50
	v_sub_f32_e32 v50, v78, v88
	v_mov_b32_e32 v72, v135
	v_add_f32_e32 v73, v95, v90
	v_fmac_f32_e32 v72, 0xbf5db3d7, v50
	v_fmac_f32_e32 v135, 0x3f5db3d7, v50
	v_add_f32_e32 v50, v116, v95
	v_fmac_f32_e32 v116, -0.5, v73
	v_add_f32_e32 v75, v49, v74
	v_sub_f32_e32 v49, v49, v74
	v_sub_f32_e32 v73, v91, v96
	v_mov_b32_e32 v74, v116
	v_add_f32_e32 v78, v91, v96
	v_fmac_f32_e32 v74, 0x3f5db3d7, v73
	v_fmac_f32_e32 v116, 0xbf5db3d7, v73
	v_add_f32_e32 v73, v32, v91
	v_fmac_f32_e32 v32, -0.5, v78
	v_sub_f32_e32 v78, v95, v90
	v_mov_b32_e32 v79, v32
	v_fmac_f32_e32 v79, 0xbf5db3d7, v78
	v_fmac_f32_e32 v32, 0x3f5db3d7, v78
	v_mul_f32_e32 v91, -0.5, v116
	v_add_f32_e32 v48, v48, v88
	v_add_f32_e32 v73, v73, v96
	v_mul_f32_e32 v88, 0x3f5db3d7, v79
	v_fmac_f32_e32 v91, 0x3f5db3d7, v32
	v_mul_f32_e32 v32, -0.5, v32
	v_fmac_f32_e32 v88, 0.5, v74
	v_add_f32_e32 v95, v66, v91
	v_add_f32_e32 v96, v70, v73
	v_mul_f32_e32 v74, 0xbf5db3d7, v74
	v_fmac_f32_e32 v32, 0xbf5db3d7, v116
	v_sub_f32_e32 v66, v66, v91
	v_sub_f32_e32 v91, v70, v73
	v_add_f32_e32 v70, v82, v47
	v_add_f32_e32 v50, v50, v90
	v_fmac_f32_e32 v74, 0.5, v79
	v_add_f32_e32 v108, v135, v32
	v_sub_f32_e32 v110, v135, v32
	v_add_f32_e32 v32, v62, v82
	v_fmac_f32_e32 v62, -0.5, v70
	v_add_f32_e32 v78, v48, v50
	v_add_f32_e32 v90, v71, v88
	v_add_f32_e32 v107, v72, v74
	v_sub_f32_e32 v48, v48, v50
	v_sub_f32_e32 v50, v71, v88
	;; [unrolled: 1-line block ×4, first 2 shown]
	v_mov_b32_e32 v71, v62
	v_add_f32_e32 v72, v83, v98
	v_fmac_f32_e32 v71, 0x3f5db3d7, v70
	v_fmac_f32_e32 v62, 0xbf5db3d7, v70
	v_add_f32_e32 v70, v134, v83
	v_fmac_f32_e32 v134, -0.5, v72
	v_add_f32_e32 v32, v32, v47
	v_sub_f32_e32 v47, v82, v47
	v_mov_b32_e32 v72, v134
	v_add_f32_e32 v73, v76, v45
	v_fmac_f32_e32 v72, 0xbf5db3d7, v47
	v_fmac_f32_e32 v134, 0x3f5db3d7, v47
	v_add_f32_e32 v47, v80, v76
	v_fmac_f32_e32 v80, -0.5, v73
	v_sub_f32_e32 v73, v97, v99
	v_mov_b32_e32 v74, v80
	v_add_f32_e32 v79, v97, v99
	v_fmac_f32_e32 v74, 0x3f5db3d7, v73
	v_fmac_f32_e32 v80, 0xbf5db3d7, v73
	v_add_f32_e32 v73, v81, v97
	v_fmac_f32_e32 v81, -0.5, v79
	v_add_f32_e32 v47, v47, v45
	v_sub_f32_e32 v45, v76, v45
	v_mov_b32_e32 v76, v81
	v_fmac_f32_e32 v76, 0xbf5db3d7, v45
	v_add_f32_e32 v70, v70, v98
	v_add_f32_e32 v73, v73, v99
	v_fmac_f32_e32 v81, 0x3f5db3d7, v45
	v_mul_f32_e32 v79, 0x3f5db3d7, v76
	v_mul_f32_e32 v83, -0.5, v80
	v_mul_f32_e32 v104, -0.5, v137
	v_fmac_f32_e32 v79, 0.5, v74
	v_fmac_f32_e32 v83, 0x3f5db3d7, v81
	v_add_f32_e32 v97, v70, v73
	v_mul_f32_e32 v74, 0xbf5db3d7, v74
	v_sub_f32_e32 v111, v70, v73
	v_add_f32_e32 v70, v86, v77
	v_fmac_f32_e32 v104, 0xbf5db3d7, v136
	v_add_f32_e32 v45, v32, v47
	v_add_f32_e32 v82, v71, v79
	;; [unrolled: 1-line block ×3, first 2 shown]
	v_fmac_f32_e32 v74, 0.5, v76
	v_sub_f32_e32 v32, v32, v47
	v_sub_f32_e32 v47, v71, v79
	;; [unrolled: 1-line block ×3, first 2 shown]
	v_add_f32_e32 v62, v58, v86
	v_fmac_f32_e32 v58, -0.5, v70
	v_add_f32_e32 v105, v112, v104
	v_sub_f32_e32 v104, v112, v104
	v_add_f32_e32 v98, v72, v74
	v_mul_f32_e32 v76, -0.5, v81
	v_sub_f32_e32 v112, v72, v74
	v_sub_f32_e32 v70, v87, v100
	v_mov_b32_e32 v72, v58
	v_add_f32_e32 v73, v87, v100
	v_fmac_f32_e32 v76, 0xbf5db3d7, v80
	v_fmac_f32_e32 v72, 0x3f5db3d7, v70
	;; [unrolled: 1-line block ×3, first 2 shown]
	v_add_f32_e32 v70, v133, v87
	v_fmac_f32_e32 v133, -0.5, v73
	v_add_f32_e32 v99, v134, v76
	v_sub_f32_e32 v113, v134, v76
	v_sub_f32_e32 v73, v86, v77
	v_mov_b32_e32 v74, v133
	v_add_f32_e32 v76, v46, v40
	v_fmac_f32_e32 v74, 0xbf5db3d7, v73
	v_fmac_f32_e32 v133, 0x3f5db3d7, v73
	v_add_f32_e32 v73, v84, v46
	v_fmac_f32_e32 v84, -0.5, v76
	v_add_f32_e32 v62, v62, v77
	v_sub_f32_e32 v76, v37, v33
	v_mov_b32_e32 v77, v84
	v_fmac_f32_e32 v77, 0x3f5db3d7, v76
	v_fmac_f32_e32 v84, 0xbf5db3d7, v76
	v_add_f32_e32 v76, v85, v37
	v_add_f32_e32 v76, v76, v33
	;; [unrolled: 1-line block ×3, first 2 shown]
	v_fmac_f32_e32 v85, -0.5, v33
	v_sub_f32_e32 v33, v46, v40
	v_mov_b32_e32 v37, v85
	v_add_f32_e32 v70, v70, v100
	v_fmac_f32_e32 v37, 0xbf5db3d7, v33
	v_add_f32_e32 v73, v73, v40
	v_mul_f32_e32 v40, 0x3f5db3d7, v37
	v_add_f32_e32 v100, v70, v76
	v_sub_f32_e32 v115, v70, v76
	v_add_f32_e32 v70, v93, v42
	v_fmac_f32_e32 v85, 0x3f5db3d7, v33
	v_add_f32_e32 v33, v62, v73
	v_fmac_f32_e32 v40, 0.5, v77
	v_sub_f32_e32 v73, v62, v73
	v_add_f32_e32 v62, v12, v93
	v_fmac_f32_e32 v12, -0.5, v70
	v_add_f32_e32 v46, v72, v40
	v_sub_f32_e32 v40, v72, v40
	v_sub_f32_e32 v70, v94, v35
	v_mov_b32_e32 v72, v12
	v_fmac_f32_e32 v72, 0x3f5db3d7, v70
	v_fmac_f32_e32 v12, 0xbf5db3d7, v70
	v_add_f32_e32 v70, v69, v94
	v_mul_f32_e32 v77, 0xbf5db3d7, v77
	v_add_f32_e32 v70, v70, v35
	v_add_f32_e32 v35, v94, v35
	v_fmac_f32_e32 v77, 0.5, v37
	v_fmac_f32_e32 v69, -0.5, v35
	v_add_f32_e32 v37, v74, v77
	v_sub_f32_e32 v116, v74, v77
	v_add_f32_e32 v62, v62, v42
	v_sub_f32_e32 v35, v93, v42
	v_mov_b32_e32 v42, v69
	v_add_f32_e32 v74, v43, v39
	v_fmac_f32_e32 v42, 0xbf5db3d7, v35
	v_fmac_f32_e32 v69, 0x3f5db3d7, v35
	v_add_f32_e32 v35, v89, v43
	v_fmac_f32_e32 v89, -0.5, v74
	v_sub_f32_e32 v74, v38, v34
	v_mov_b32_e32 v76, v89
	v_fmac_f32_e32 v76, 0x3f5db3d7, v74
	v_fmac_f32_e32 v89, 0xbf5db3d7, v74
	v_add_f32_e32 v74, v92, v38
	v_add_f32_e32 v74, v74, v34
	;; [unrolled: 1-line block ×3, first 2 shown]
	v_fmac_f32_e32 v92, -0.5, v34
	v_add_f32_e32 v35, v35, v39
	v_sub_f32_e32 v34, v43, v39
	v_mov_b32_e32 v38, v92
	v_fmac_f32_e32 v38, 0xbf5db3d7, v34
	v_fmac_f32_e32 v92, 0x3f5db3d7, v34
	v_add_f32_e32 v34, v62, v35
	v_sub_f32_e32 v35, v62, v35
	v_mov_b32_e32 v62, 2
	v_lshlrev_b32_sdwa v18, v62, v18 dst_sel:DWORD dst_unused:UNUSED_PAD src0_sel:DWORD src1_sel:BYTE_0
	v_add3_u32 v15, 0, v15, v18
	s_barrier
	ds_write2_b32 v15, v36, v75 offset1:10
	ds_write2_b32 v15, v102, v44 offset0:20 offset1:30
	ds_write2_b32 v15, v49, v31 offset0:40 offset1:50
	v_mul_u32_u24_e32 v18, 0xf0, v59
	v_lshlrev_b32_sdwa v31, v62, v60 dst_sel:DWORD dst_unused:UNUSED_PAD src0_sel:DWORD src1_sel:BYTE_0
	v_add3_u32 v18, 0, v18, v31
	v_mul_u32_u24_e32 v31, 0xf0, v61
	v_lshlrev_b32_e32 v36, 2, v63
	v_add3_u32 v44, 0, v31, v36
	v_mul_f32_e32 v79, -0.5, v84
	v_mul_f32_e32 v81, -0.5, v85
	v_mul_f32_e32 v39, 0x3f5db3d7, v38
	v_mul_f32_e32 v77, -0.5, v89
	ds_write2_b32 v18, v78, v90 offset1:10
	ds_write2_b32 v18, v95, v48 offset0:20 offset1:30
	ds_write2_b32 v18, v50, v66 offset0:40 offset1:50
	ds_write2_b32 v44, v45, v82 offset1:10
	ds_write2_b32 v44, v88, v32 offset0:20 offset1:30
	ds_write2_b32 v44, v47, v71 offset0:40 offset1:50
	v_mul_u32_u24_e32 v31, 0xf0, v64
	v_lshlrev_b32_e32 v32, 2, v65
	v_fmac_f32_e32 v79, 0x3f5db3d7, v85
	v_fmac_f32_e32 v81, 0xbf5db3d7, v84
	v_fmac_f32_e32 v39, 0.5, v76
	v_fmac_f32_e32 v77, 0x3f5db3d7, v92
	v_mul_f32_e32 v76, 0xbf5db3d7, v76
	v_add3_u32 v45, 0, v31, v32
	v_mul_u32_u24_e32 v31, 0xf0, v67
	v_lshlrev_b32_e32 v32, 2, v68
	v_add_f32_e32 v80, v58, v79
	v_add_f32_e32 v114, v133, v81
	v_sub_f32_e32 v58, v58, v79
	v_sub_f32_e32 v117, v133, v81
	v_add_f32_e32 v43, v72, v39
	v_add_f32_e32 v79, v12, v77
	v_fmac_f32_e32 v76, 0.5, v38
	v_mul_f32_e32 v81, -0.5, v92
	v_sub_f32_e32 v12, v12, v77
	ds_write2_b32 v45, v33, v46 offset1:10
	ds_write2_b32 v45, v80, v73 offset0:20 offset1:30
	ds_write2_b32 v45, v40, v58 offset0:40 offset1:50
	v_add3_u32 v40, 0, v31, v32
	v_add_f32_e32 v38, v42, v76
	v_fmac_f32_e32 v81, 0xbf5db3d7, v89
	v_sub_f32_e32 v39, v72, v39
	ds_write2_b32 v40, v34, v43 offset1:10
	ds_write2_b32 v40, v79, v35 offset0:20 offset1:30
	ds_write2_b32 v40, v39, v12 offset0:40 offset1:50
	v_lshl_add_u32 v47, v23, 2, 0
	v_lshl_add_u32 v12, v16, 2, 0
	v_add_f32_e32 v93, v70, v74
	v_add_f32_e32 v89, v69, v81
	v_sub_f32_e32 v92, v70, v74
	v_sub_f32_e32 v42, v42, v76
	;; [unrolled: 1-line block ×3, first 2 shown]
	s_waitcnt lgkmcnt(0)
	s_barrier
	ds_read2st64_b32 v[31:32], v53 offset1:30
	ds_read2st64_b32 v[75:76], v53 offset0:32 offset1:34
	ds_read2st64_b32 v[77:78], v53 offset0:36 offset1:38
	ds_read_b32 v68, v54
	ds_read2st64_b32 v[79:80], v53 offset0:40 offset1:42
	v_lshl_add_u32 v48, v8, 2, 0
	ds_read2st64_b32 v[81:82], v53 offset0:44 offset1:46
	v_lshl_add_u32 v49, v13, 2, 0
	v_lshl_add_u32 v50, v6, 2, 0
	ds_read_b32 v70, v47
	ds_read_b32 v69, v48
	;; [unrolled: 1-line block ×4, first 2 shown]
	ds_read2st64_b32 v[83:84], v53 offset0:48 offset1:50
	ds_read_b32 v71, v56
	ds_read_b32 v72, v55
	;; [unrolled: 1-line block ×3, first 2 shown]
	ds_read2st64_b32 v[85:86], v53 offset0:52 offset1:54
	v_lshl_add_u32 v58, v9, 2, 0
	v_lshl_add_u32 v59, v14, 2, 0
	ds_read_b32 v65, v12
	ds_read_b32 v36, v58
	;; [unrolled: 1-line block ×3, first 2 shown]
	ds_read2st64_b32 v[87:88], v53 offset0:56 offset1:58
	v_lshl_add_u32 v60, v17, 2, 0
	ds_read_b32 v73, v10
	ds_read_b32 v74, v7
	;; [unrolled: 1-line block ×3, first 2 shown]
	s_waitcnt lgkmcnt(0)
	s_barrier
	ds_write2_b32 v15, v103, v41 offset1:10
	ds_write2_b32 v15, v105, v101 offset0:20 offset1:30
	ds_write2_b32 v15, v106, v104 offset0:40 offset1:50
	ds_write2_b32 v18, v96, v107 offset1:10
	ds_write2_b32 v18, v108, v91 offset0:20 offset1:30
	ds_write2_b32 v18, v109, v110 offset0:40 offset1:50
	;; [unrolled: 3-line block ×5, first 2 shown]
	v_mul_lo_u16_sdwa v63, v19, s0 dst_sel:DWORD dst_unused:UNUSED_PAD src0_sel:BYTE_0 src1_sel:DWORD
	v_mul_u32_u24_sdwa v38, v29, s1 dst_sel:DWORD dst_unused:UNUSED_PAD src0_sel:WORD_0 src1_sel:DWORD
	v_lshrrev_b16_e32 v127, 13, v63
	v_mul_u32_u24_sdwa v64, v21, s1 dst_sel:DWORD dst_unused:UNUSED_PAD src0_sel:WORD_0 src1_sel:DWORD
	v_lshrrev_b32_e32 v131, 21, v38
	v_mul_lo_u16_e32 v15, 60, v127
	v_lshrrev_b32_e32 v129, 21, v64
	v_mul_lo_u16_e32 v37, 60, v131
	v_mov_b32_e32 v61, 3
	v_sub_u16_e32 v128, v19, v15
	v_mul_lo_u16_e32 v18, 60, v129
	v_sub_u16_e32 v132, v29, v37
	v_mul_u32_u24_sdwa v39, v25, s1 dst_sel:DWORD dst_unused:UNUSED_PAD src0_sel:WORD_0 src1_sel:DWORD
	v_lshlrev_b32_sdwa v15, v61, v128 dst_sel:DWORD dst_unused:UNUSED_PAD src0_sel:DWORD src1_sel:BYTE_0
	v_sub_u16_e32 v130, v21, v18
	v_lshlrev_b32_e32 v37, 3, v132
	v_lshrrev_b32_e32 v133, 21, v39
	v_mul_u32_u24_sdwa v40, v27, s1 dst_sel:DWORD dst_unused:UNUSED_PAD src0_sel:WORD_0 src1_sel:DWORD
	s_waitcnt lgkmcnt(0)
	s_barrier
	v_lshlrev_b32_e32 v18, 3, v130
	global_load_dwordx2 v[89:90], v15, s[12:13] offset:400
	global_load_dwordx2 v[91:92], v18, s[12:13] offset:400
	;; [unrolled: 1-line block ×3, first 2 shown]
	v_mul_lo_u16_e32 v15, 60, v133
	v_lshrrev_b32_e32 v135, 21, v40
	v_mul_u32_u24_sdwa v37, v23, s1 dst_sel:DWORD dst_unused:UNUSED_PAD src0_sel:WORD_0 src1_sel:DWORD
	v_sub_u16_e32 v134, v25, v15
	v_mul_lo_u16_e32 v15, 60, v135
	v_lshrrev_b32_e32 v137, 21, v37
	v_sub_u16_e32 v136, v27, v15
	v_mul_lo_u16_e32 v15, 60, v137
	v_sub_u16_e32 v138, v23, v15
	v_mul_u32_u24_sdwa v15, v8, s1 dst_sel:DWORD dst_unused:UNUSED_PAD src0_sel:WORD_0 src1_sel:DWORD
	v_lshrrev_b32_e32 v139, 21, v15
	v_mul_lo_u16_e32 v43, 60, v139
	v_lshlrev_b32_e32 v18, 3, v134
	v_sub_u16_e32 v140, v8, v43
	v_lshlrev_b32_e32 v41, 3, v136
	v_lshlrev_b32_e32 v42, 3, v138
	;; [unrolled: 1-line block ×3, first 2 shown]
	global_load_dwordx2 v[95:96], v18, s[12:13] offset:400
	global_load_dwordx2 v[97:98], v41, s[12:13] offset:400
	;; [unrolled: 1-line block ×4, first 2 shown]
	v_mul_u32_u24_sdwa v44, v13, s1 dst_sel:DWORD dst_unused:UNUSED_PAD src0_sel:WORD_0 src1_sel:DWORD
	v_lshrrev_b32_e32 v141, 21, v44
	v_mul_u32_u24_sdwa v46, v6, s1 dst_sel:DWORD dst_unused:UNUSED_PAD src0_sel:WORD_0 src1_sel:DWORD
	v_mul_lo_u16_e32 v18, 60, v141
	v_lshrrev_b32_e32 v143, 21, v46
	v_sub_u16_e32 v142, v13, v18
	v_mul_lo_u16_e32 v18, 60, v143
	v_lshlrev_b32_e32 v42, 3, v142
	v_sub_u16_e32 v144, v6, v18
	v_mul_u32_u24_sdwa v41, v11, s1 dst_sel:DWORD dst_unused:UNUSED_PAD src0_sel:WORD_0 src1_sel:DWORD
	global_load_dwordx2 v[103:104], v42, s[12:13] offset:400
	v_lshlrev_b32_e32 v42, 3, v144
	v_lshrrev_b32_e32 v145, 21, v41
	global_load_dwordx2 v[105:106], v42, s[12:13] offset:400
	v_mul_lo_u16_e32 v18, 60, v145
	v_sub_u16_e32 v146, v11, v18
	v_mul_u32_u24_sdwa v18, v16, s1 dst_sel:DWORD dst_unused:UNUSED_PAD src0_sel:WORD_0 src1_sel:DWORD
	v_lshrrev_b32_e32 v147, 21, v18
	v_mul_lo_u16_e32 v43, 60, v147
	v_sub_u16_e32 v148, v16, v43
	v_lshlrev_b32_e32 v43, 3, v146
	v_lshlrev_b32_e32 v42, 3, v148
	global_load_dwordx2 v[107:108], v43, s[12:13] offset:400
	global_load_dwordx2 v[109:110], v42, s[12:13] offset:400
	v_mul_u32_u24_sdwa v45, v9, s1 dst_sel:DWORD dst_unused:UNUSED_PAD src0_sel:WORD_0 src1_sel:DWORD
	v_lshrrev_b32_e32 v149, 21, v45
	v_mul_u32_u24_sdwa v43, v14, s1 dst_sel:DWORD dst_unused:UNUSED_PAD src0_sel:WORD_0 src1_sel:DWORD
	v_mul_lo_u16_e32 v42, 60, v149
	v_lshrrev_b32_e32 v151, 21, v43
	v_sub_u16_e32 v150, v9, v42
	v_mul_lo_u16_e32 v42, 60, v151
	v_sub_u16_e32 v152, v14, v42
	v_lshlrev_b32_e32 v111, 3, v150
	global_load_dwordx2 v[111:112], v111, s[12:13] offset:400
	v_lshlrev_b32_e32 v113, 3, v152
	global_load_dwordx2 v[113:114], v113, s[12:13] offset:400
	v_mul_u32_u24_sdwa v42, v17, s1 dst_sel:DWORD dst_unused:UNUSED_PAD src0_sel:WORD_0 src1_sel:DWORD
	v_lshrrev_b32_e32 v153, 21, v42
	v_mul_lo_u16_sdwa v117, v0, s0 dst_sel:DWORD dst_unused:UNUSED_PAD src0_sel:BYTE_0 src1_sel:DWORD
	v_mul_lo_u16_e32 v115, 60, v153
	v_lshrrev_b16_e32 v155, 13, v117
	v_sub_u16_e32 v154, v17, v115
	v_mul_lo_u16_e32 v117, 60, v155
	v_lshlrev_b32_e32 v115, 3, v154
	global_load_dwordx2 v[115:116], v115, s[12:13] offset:400
	v_sub_u16_e32 v156, v0, v117
	v_lshlrev_b32_sdwa v117, v61, v156 dst_sel:DWORD dst_unused:UNUSED_PAD src0_sel:DWORD src1_sel:BYTE_0
	global_load_dwordx2 v[117:118], v117, s[12:13] offset:400
	ds_read2st64_b32 v[119:120], v53 offset0:32 offset1:34
	ds_read2st64_b32 v[121:122], v53 offset0:36 offset1:38
	;; [unrolled: 1-line block ×4, first 2 shown]
	s_movk_i32 s0, 0x78
	v_cmp_gt_u32_e64 s[0:1], s0, v0
	s_waitcnt vmcnt(14) lgkmcnt(3)
	v_mul_f32_e32 v157, v119, v90
	v_fma_f32 v157, v75, v89, -v157
	v_mul_f32_e32 v158, v75, v90
	s_waitcnt vmcnt(13)
	v_mul_f32_e32 v75, v120, v92
	v_fmac_f32_e32 v158, v119, v89
	v_fma_f32 v89, v76, v91, -v75
	v_mul_f32_e32 v92, v76, v92
	s_waitcnt vmcnt(12) lgkmcnt(2)
	v_mul_f32_e32 v75, v121, v94
	v_fmac_f32_e32 v92, v120, v91
	v_fma_f32 v90, v77, v93, -v75
	v_mul_f32_e32 v91, v77, v94
	v_fmac_f32_e32 v91, v121, v93
	s_waitcnt vmcnt(11)
	v_mul_f32_e32 v75, v122, v96
	v_fma_f32 v93, v78, v95, -v75
	v_mul_f32_e32 v94, v78, v96
	s_waitcnt vmcnt(10) lgkmcnt(1)
	v_mul_f32_e32 v75, v123, v98
	v_fmac_f32_e32 v94, v122, v95
	v_fma_f32 v95, v79, v97, -v75
	s_waitcnt vmcnt(9)
	v_mul_f32_e32 v75, v124, v100
	v_mul_f32_e32 v96, v79, v98
	v_fma_f32 v79, v80, v99, -v75
	s_waitcnt vmcnt(8) lgkmcnt(0)
	v_mul_f32_e32 v75, v125, v102
	v_fmac_f32_e32 v96, v123, v97
	v_mul_f32_e32 v97, v80, v100
	v_fma_f32 v80, v81, v101, -v75
	ds_read2st64_b32 v[75:76], v53 offset0:48 offset1:50
	s_waitcnt vmcnt(7)
	v_mul_f32_e32 v77, v126, v104
	v_mul_f32_e32 v98, v81, v102
	v_fma_f32 v81, v82, v103, -v77
	v_fmac_f32_e32 v97, v124, v99
	s_waitcnt vmcnt(6) lgkmcnt(0)
	v_mul_f32_e32 v77, v75, v106
	v_mul_f32_e32 v99, v82, v104
	v_fma_f32 v82, v83, v105, -v77
	ds_read2st64_b32 v[77:78], v53 offset0:52 offset1:54
	v_mul_f32_e32 v100, v83, v106
	v_fmac_f32_e32 v100, v75, v105
	v_fmac_f32_e32 v98, v125, v101
	s_waitcnt vmcnt(5)
	v_mul_f32_e32 v75, v76, v108
	v_fma_f32 v83, v84, v107, -v75
	v_mul_f32_e32 v101, v84, v108
	s_waitcnt vmcnt(4) lgkmcnt(0)
	v_mul_f32_e32 v75, v77, v110
	v_fmac_f32_e32 v101, v76, v107
	v_fma_f32 v84, v85, v109, -v75
	ds_read2st64_b32 v[75:76], v53 offset0:56 offset1:58
	v_mul_f32_e32 v102, v85, v110
	v_fmac_f32_e32 v102, v77, v109
	v_fmac_f32_e32 v99, v126, v103
	s_waitcnt vmcnt(3)
	v_mul_f32_e32 v77, v78, v112
	v_fma_f32 v85, v86, v111, -v77
	v_mul_f32_e32 v103, v86, v112
	s_waitcnt vmcnt(2) lgkmcnt(0)
	v_mul_f32_e32 v77, v75, v114
	v_fmac_f32_e32 v103, v78, v111
	v_fma_f32 v86, v87, v113, -v77
	ds_read2st64_b32 v[77:78], v53 offset1:30
	v_mul_f32_e32 v104, v87, v114
	v_fmac_f32_e32 v104, v75, v113
	v_lshlrev_b32_sdwa v87, v62, v156 dst_sel:DWORD dst_unused:UNUSED_PAD src0_sel:DWORD src1_sel:BYTE_0
	s_waitcnt vmcnt(1)
	v_mul_f32_e32 v105, v88, v116
	v_mul_f32_e32 v75, v76, v116
	v_fmac_f32_e32 v105, v76, v115
	s_waitcnt vmcnt(0) lgkmcnt(0)
	v_mul_f32_e32 v76, v78, v118
	v_fma_f32 v76, v32, v117, -v76
	v_mul_f32_e32 v32, v32, v118
	v_fmac_f32_e32 v32, v78, v117
	v_sub_f32_e32 v76, v31, v76
	v_mul_u32_u24_e32 v78, 0x1e0, v155
	v_fma_f32 v31, v31, 2.0, -v76
	v_add3_u32 v106, 0, v78, v87
	v_fma_f32 v75, v88, v115, -v75
	ds_read_b32 v107, v54
	ds_read_b32 v108, v47
	;; [unrolled: 1-line block ×14, first 2 shown]
	s_waitcnt lgkmcnt(0)
	s_barrier
	ds_write2_b32 v106, v31, v76 offset1:60
	v_mul_u32_u24_e32 v31, 0x1e0, v127
	v_lshlrev_b32_sdwa v76, v62, v128 dst_sel:DWORD dst_unused:UNUSED_PAD src0_sel:DWORD src1_sel:BYTE_0
	v_add3_u32 v31, 0, v31, v76
	v_sub_f32_e32 v76, v74, v157
	v_fma_f32 v74, v74, 2.0, -v76
	ds_write2_b32 v31, v74, v76 offset1:60
	v_mul_u32_u24_e32 v74, 0x1e0, v129
	v_lshlrev_b32_e32 v76, 2, v130
	v_add3_u32 v121, 0, v74, v76
	v_sub_f32_e32 v74, v73, v89
	v_fma_f32 v73, v73, 2.0, -v74
	ds_write2_b32 v121, v73, v74 offset1:60
	v_mul_u32_u24_e32 v73, 0x1e0, v131
	v_lshlrev_b32_e32 v74, 2, v132
	;; [unrolled: 6-line block ×8, first 2 shown]
	v_add3_u32 v126, 0, v66, v68
	v_sub_f32_e32 v66, v34, v82
	v_fma_f32 v34, v34, 2.0, -v66
	ds_write2_b32 v126, v34, v66 offset1:60
	v_sub_f32_e32 v34, v33, v83
	v_mul_u32_u24_e32 v71, 0x1e0, v145
	v_lshlrev_b32_e32 v72, 2, v146
	v_fma_f32 v33, v33, 2.0, -v34
	v_add3_u32 v128, 0, v71, v72
	ds_write2_b32 v128, v33, v34 offset1:60
	v_mul_u32_u24_e32 v33, 0x1e0, v147
	v_lshlrev_b32_e32 v34, 2, v148
	v_add3_u32 v129, 0, v33, v34
	v_mul_u32_u24_e32 v33, 0x1e0, v149
	v_lshlrev_b32_e32 v34, 2, v150
	v_add3_u32 v130, 0, v33, v34
	v_mul_u32_u24_e32 v33, 0x1e0, v151
	v_lshlrev_b32_e32 v34, 2, v152
	v_sub_f32_e32 v32, v77, v32
	v_sub_f32_e32 v66, v65, v84
	;; [unrolled: 1-line block ×5, first 2 shown]
	v_add3_u32 v131, 0, v33, v34
	v_mul_u32_u24_e32 v33, 0x1e0, v153
	v_lshlrev_b32_e32 v34, 2, v154
	v_fma_f32 v127, v77, 2.0, -v32
	v_fma_f32 v65, v65, 2.0, -v66
	;; [unrolled: 1-line block ×5, first 2 shown]
	v_add3_u32 v132, 0, v33, v34
	ds_write2_b32 v129, v65, v66 offset1:60
	ds_write2_b32 v130, v36, v68 offset1:60
	;; [unrolled: 1-line block ×4, first 2 shown]
	s_waitcnt lgkmcnt(0)
	s_barrier
	ds_read2st64_b32 v[33:34], v53 offset1:30
	ds_read_b32 v74, v54
	ds_read_b32 v73, v47
	;; [unrolled: 1-line block ×14, first 2 shown]
	ds_read2st64_b32 v[79:80], v53 offset0:32 offset1:34
	ds_read2st64_b32 v[81:82], v53 offset0:36 offset1:38
	;; [unrolled: 1-line block ×7, first 2 shown]
	s_waitcnt lgkmcnt(0)
	s_barrier
	ds_write2_b32 v106, v127, v32 offset1:60
	v_sub_f32_e32 v32, v119, v158
	v_fma_f32 v106, v119, 2.0, -v32
	ds_write2_b32 v31, v106, v32 offset1:60
	v_sub_f32_e32 v31, v118, v92
	v_fma_f32 v32, v118, 2.0, -v31
	;; [unrolled: 3-line block ×5, first 2 shown]
	v_sub_f32_e32 v91, v108, v97
	v_sub_f32_e32 v94, v109, v98
	v_sub_f32_e32 v97, v110, v99
	v_sub_f32_e32 v99, v111, v100
	v_sub_f32_e32 v101, v114, v101
	v_sub_f32_e32 v102, v115, v102
	v_sub_f32_e32 v103, v116, v103
	v_sub_f32_e32 v104, v117, v104
	v_sub_f32_e32 v105, v120, v105
	v_lshrrev_b16_e32 v123, 14, v63
	v_fma_f32 v92, v108, 2.0, -v91
	v_fma_f32 v96, v109, 2.0, -v94
	v_fma_f32 v98, v110, 2.0, -v97
	v_fma_f32 v100, v111, 2.0, -v99
	v_fma_f32 v106, v114, 2.0, -v101
	v_fma_f32 v107, v115, 2.0, -v102
	v_fma_f32 v108, v116, 2.0, -v103
	v_fma_f32 v109, v117, 2.0, -v104
	v_fma_f32 v110, v120, 2.0, -v105
	ds_write2_b32 v93, v32, v31 offset1:60
	ds_write2_b32 v95, v92, v91 offset1:60
	;; [unrolled: 1-line block ×10, first 2 shown]
	v_mul_lo_u16_e32 v31, 0x78, v123
	v_sub_u16_e32 v124, v19, v31
	v_lshrrev_b32_e32 v125, 22, v64
	v_lshrrev_b32_e32 v127, 22, v38
	v_lshlrev_b32_sdwa v31, v61, v124 dst_sel:DWORD dst_unused:UNUSED_PAD src0_sel:DWORD src1_sel:BYTE_0
	v_mul_lo_u16_e32 v32, 0x78, v125
	v_mul_lo_u16_e32 v61, 0x78, v127
	v_sub_u16_e32 v126, v21, v32
	v_sub_u16_e32 v128, v29, v61
	s_waitcnt lgkmcnt(0)
	s_barrier
	v_lshlrev_b32_e32 v32, 3, v126
	v_lshlrev_b32_e32 v61, 3, v128
	global_load_dwordx2 v[63:64], v31, s[12:13] offset:880
	global_load_dwordx2 v[91:92], v32, s[12:13] offset:880
	;; [unrolled: 1-line block ×3, first 2 shown]
	v_lshrrev_b32_e32 v129, 22, v39
	v_mul_lo_u16_e32 v31, 0x78, v129
	v_lshrrev_b32_e32 v131, 22, v40
	v_lshrrev_b32_e32 v133, 22, v37
	;; [unrolled: 1-line block ×3, first 2 shown]
	v_sub_u16_e32 v130, v25, v31
	v_mul_lo_u16_e32 v32, 0x78, v131
	v_mul_lo_u16_e32 v61, 0x78, v133
	;; [unrolled: 1-line block ×3, first 2 shown]
	v_lshlrev_b32_e32 v31, 3, v130
	v_sub_u16_e32 v132, v27, v32
	v_sub_u16_e32 v134, v23, v61
	;; [unrolled: 1-line block ×3, first 2 shown]
	v_lshlrev_b32_e32 v32, 3, v132
	v_lshlrev_b32_e32 v61, 3, v134
	;; [unrolled: 1-line block ×3, first 2 shown]
	global_load_dwordx2 v[95:96], v31, s[12:13] offset:880
	global_load_dwordx2 v[97:98], v32, s[12:13] offset:880
	;; [unrolled: 1-line block ×4, first 2 shown]
	v_lshrrev_b32_e32 v137, 22, v44
	v_mul_lo_u16_e32 v31, 0x78, v137
	v_sub_u16_e32 v138, v13, v31
	v_lshrrev_b32_e32 v139, 22, v46
	v_lshlrev_b32_e32 v31, 3, v138
	v_mul_lo_u16_e32 v32, 0x78, v139
	v_lshrrev_b32_e32 v141, 22, v41
	v_sub_u16_e32 v140, v6, v32
	v_mul_lo_u16_e32 v32, 0x78, v141
	v_lshrrev_b32_e32 v143, 22, v18
	global_load_dwordx2 v[103:104], v31, s[12:13] offset:880
	v_sub_u16_e32 v142, v11, v32
	v_mul_lo_u16_e32 v32, 0x78, v143
	v_sub_u16_e32 v144, v16, v32
	v_lshlrev_b32_e32 v32, 3, v140
	v_lshlrev_b32_e32 v61, 3, v142
	;; [unrolled: 1-line block ×3, first 2 shown]
	global_load_dwordx2 v[105:106], v32, s[12:13] offset:880
	global_load_dwordx2 v[107:108], v61, s[12:13] offset:880
	;; [unrolled: 1-line block ×3, first 2 shown]
	v_lshrrev_b32_e32 v145, 22, v45
	v_mul_lo_u16_e32 v31, 0x78, v145
	v_lshrrev_b32_e32 v147, 22, v43
	v_sub_u16_e32 v146, v9, v31
	v_mul_lo_u16_e32 v31, 0x78, v147
	v_lshrrev_b32_e32 v149, 22, v42
	v_sub_u16_e32 v148, v14, v31
	v_mul_lo_u16_e32 v31, 0x78, v149
	v_sub_u16_e32 v150, v17, v31
	v_lshlrev_b32_e32 v31, 3, v146
	v_lshlrev_b32_e32 v32, 3, v148
	;; [unrolled: 1-line block ×3, first 2 shown]
	global_load_dwordx2 v[111:112], v31, s[12:13] offset:880
	global_load_dwordx2 v[113:114], v32, s[12:13] offset:880
	;; [unrolled: 1-line block ×3, first 2 shown]
	v_add_u32_e32 v31, 0xffffff88, v0
	v_cndmask_b32_e64 v31, v31, v0, s[0:1]
	v_mov_b32_e32 v32, 0
	v_lshlrev_b64 v[117:118], 3, v[31:32]
	v_mov_b32_e32 v61, s13
	v_add_co_u32_e64 v117, s[0:1], s12, v117
	v_addc_co_u32_e64 v118, s[0:1], v61, v118, s[0:1]
	global_load_dwordx2 v[117:118], v[117:118], off offset:880
	ds_read2st64_b32 v[119:120], v53 offset0:32 offset1:34
	ds_read2st64_b32 v[121:122], v53 offset0:36 offset1:38
	s_movk_i32 s0, 0x77
	v_cmp_lt_u32_e64 s[0:1], s0, v0
	v_lshlrev_b32_e32 v31, 2, v31
	s_waitcnt vmcnt(14) lgkmcnt(1)
	v_mul_f32_e32 v151, v119, v64
	v_mul_f32_e32 v152, v79, v64
	v_fma_f32 v151, v79, v63, -v151
	v_fmac_f32_e32 v152, v119, v63
	s_waitcnt vmcnt(13)
	v_mul_f32_e32 v63, v120, v92
	v_fma_f32 v119, v80, v91, -v63
	ds_read2st64_b32 v[63:64], v53 offset0:40 offset1:42
	v_mul_f32_e32 v92, v80, v92
	ds_read2st64_b32 v[79:80], v53 offset0:44 offset1:46
	v_fmac_f32_e32 v92, v120, v91
	s_waitcnt vmcnt(12) lgkmcnt(2)
	v_mul_f32_e32 v91, v121, v94
	v_mul_f32_e32 v94, v81, v94
	v_fma_f32 v91, v81, v93, -v91
	v_fmac_f32_e32 v94, v121, v93
	s_waitcnt vmcnt(11)
	v_mul_f32_e32 v81, v122, v96
	v_mul_f32_e32 v93, v82, v96
	v_fma_f32 v81, v82, v95, -v81
	v_fmac_f32_e32 v93, v122, v95
	s_waitcnt vmcnt(10)
	v_mul_f32_e32 v95, v83, v98
	s_waitcnt lgkmcnt(1)
	v_mul_f32_e32 v82, v63, v98
	v_fmac_f32_e32 v95, v63, v97
	s_waitcnt vmcnt(9)
	v_mul_f32_e32 v63, v64, v100
	v_fma_f32 v82, v83, v97, -v82
	v_fma_f32 v83, v84, v99, -v63
	v_mul_f32_e32 v96, v84, v100
	s_waitcnt vmcnt(8) lgkmcnt(0)
	v_mul_f32_e32 v63, v79, v102
	v_fmac_f32_e32 v96, v64, v99
	v_fma_f32 v84, v85, v101, -v63
	ds_read2st64_b32 v[63:64], v53 offset0:48 offset1:50
	v_mul_f32_e32 v97, v85, v102
	v_fmac_f32_e32 v97, v79, v101
	s_waitcnt vmcnt(7)
	v_mul_f32_e32 v79, v80, v104
	v_fma_f32 v85, v86, v103, -v79
	v_mul_f32_e32 v98, v86, v104
	s_waitcnt vmcnt(6) lgkmcnt(0)
	v_mul_f32_e32 v79, v63, v106
	v_fmac_f32_e32 v98, v80, v103
	v_fma_f32 v86, v87, v105, -v79
	ds_read2st64_b32 v[79:80], v53 offset0:52 offset1:54
	v_mul_f32_e32 v99, v87, v106
	v_fmac_f32_e32 v99, v63, v105
	s_waitcnt vmcnt(5)
	v_mul_f32_e32 v63, v64, v108
	;; [unrolled: 11-line block ×3, first 2 shown]
	v_fma_f32 v89, v90, v111, -v79
	v_mul_f32_e32 v90, v90, v112
	s_waitcnt vmcnt(2) lgkmcnt(0)
	v_mul_f32_e32 v79, v63, v114
	v_fmac_f32_e32 v90, v80, v111
	v_fma_f32 v102, v35, v113, -v79
	ds_read2st64_b32 v[79:80], v53 offset1:30
	v_mul_f32_e32 v103, v35, v114
	s_waitcnt vmcnt(1)
	v_mul_f32_e32 v35, v64, v116
	v_fma_f32 v35, v36, v115, -v35
	v_mul_f32_e32 v104, v36, v116
	s_waitcnt vmcnt(0) lgkmcnt(0)
	v_mul_f32_e32 v36, v80, v118
	v_fmac_f32_e32 v103, v63, v113
	v_fma_f32 v36, v34, v117, -v36
	v_mov_b32_e32 v63, 0x3c0
	v_sub_f32_e32 v36, v33, v36
	v_cndmask_b32_e64 v63, 0, v63, s[0:1]
	v_mul_f32_e32 v34, v34, v118
	v_fma_f32 v33, v33, 2.0, -v36
	v_add3_u32 v31, 0, v63, v31
	v_fmac_f32_e32 v104, v64, v115
	v_fmac_f32_e32 v34, v80, v117
	ds_read_b32 v105, v54
	ds_read_b32 v106, v47
	;; [unrolled: 1-line block ×14, first 2 shown]
	s_waitcnt lgkmcnt(0)
	s_barrier
	ds_write2_b32 v31, v33, v36 offset1:120
	v_lshlrev_b32_sdwa v33, v62, v124 dst_sel:DWORD dst_unused:UNUSED_PAD src0_sel:DWORD src1_sel:BYTE_0
	v_mul_u32_u24_e32 v36, 0x3c0, v123
	v_add3_u32 v33, 0, v36, v33
	v_sub_f32_e32 v36, v78, v151
	v_fma_f32 v62, v78, 2.0, -v36
	ds_write2_b32 v33, v62, v36 offset1:120
	v_mul_u32_u24_e32 v36, 0x3c0, v125
	v_lshlrev_b32_e32 v62, 2, v126
	v_add3_u32 v120, 0, v36, v62
	v_sub_f32_e32 v36, v77, v119
	v_fma_f32 v62, v77, 2.0, -v36
	ds_write2_b32 v120, v62, v36 offset1:120
	v_mul_u32_u24_e32 v36, 0x3c0, v127
	v_lshlrev_b32_e32 v62, 2, v128
	;; [unrolled: 6-line block ×9, first 2 shown]
	v_sub_f32_e32 v71, v66, v102
	v_add3_u32 v102, 0, v36, v62
	v_mul_u32_u24_e32 v36, 0x3c0, v143
	v_lshlrev_b32_e32 v62, 2, v144
	v_add3_u32 v127, 0, v36, v62
	v_mul_u32_u24_e32 v36, 0x3c0, v145
	v_lshlrev_b32_e32 v62, 2, v146
	v_sub_f32_e32 v63, v69, v87
	v_add3_u32 v128, 0, v36, v62
	v_mul_u32_u24_e32 v36, 0x3c0, v147
	v_lshlrev_b32_e32 v62, 2, v148
	v_sub_f32_e32 v34, v79, v34
	v_fma_f32 v64, v69, 2.0, -v63
	v_sub_f32_e32 v65, v67, v88
	v_sub_f32_e32 v69, v68, v89
	;; [unrolled: 1-line block ×3, first 2 shown]
	v_add3_u32 v129, 0, v36, v62
	v_mul_u32_u24_e32 v36, 0x3c0, v149
	v_lshlrev_b32_e32 v62, 2, v150
	v_fma_f32 v125, v79, 2.0, -v34
	v_fma_f32 v67, v67, 2.0, -v65
	;; [unrolled: 1-line block ×5, first 2 shown]
	v_add3_u32 v130, 0, v36, v62
	ds_write2_b32 v102, v64, v63 offset1:120
	ds_write2_b32 v127, v67, v65 offset1:120
	;; [unrolled: 1-line block ×5, first 2 shown]
	s_waitcnt lgkmcnt(0)
	s_barrier
	ds_read2st64_b32 v[35:36], v53 offset1:30
	ds_read2st64_b32 v[76:77], v53 offset0:32 offset1:34
	ds_read_b32 v70, v54
	ds_read_b32 v71, v47
	ds_read_b32 v64, v48
	ds_read_b32 v65, v49
	ds_read_b32 v62, v50
	ds_read_b32 v72, v56
	ds_read_b32 v73, v55
	ds_read_b32 v68, v57
	ds_read_b32 v66, v12
	ds_read_b32 v67, v58
	ds_read_b32 v63, v59
	ds_read_b32 v74, v10
	ds_read_b32 v75, v7
	ds_read_b32 v69, v60
	ds_read2st64_b32 v[78:79], v53 offset0:36 offset1:38
	ds_read2st64_b32 v[80:81], v53 offset0:40 offset1:42
	;; [unrolled: 1-line block ×6, first 2 shown]
	s_waitcnt lgkmcnt(0)
	s_barrier
	ds_write2_b32 v31, v125, v34 offset1:120
	v_sub_f32_e32 v31, v117, v152
	v_fma_f32 v34, v117, 2.0, -v31
	ds_write2_b32 v33, v34, v31 offset1:120
	v_sub_f32_e32 v31, v116, v92
	v_fma_f32 v33, v116, 2.0, -v31
	;; [unrolled: 3-line block ×5, first 2 shown]
	v_sub_f32_e32 v34, v106, v96
	v_sub_f32_e32 v92, v107, v97
	;; [unrolled: 1-line block ×9, first 2 shown]
	v_fma_f32 v91, v106, 2.0, -v34
	v_fma_f32 v93, v107, 2.0, -v92
	;; [unrolled: 1-line block ×9, first 2 shown]
	ds_write2_b32 v121, v33, v31 offset1:120
	ds_write2_b32 v122, v91, v34 offset1:120
	ds_write2_b32 v123, v93, v92 offset1:120
	ds_write2_b32 v124, v95, v94 offset1:120
	ds_write2_b32 v126, v97, v96 offset1:120
	ds_write2_b32 v102, v99, v98 offset1:120
	ds_write2_b32 v127, v101, v100 offset1:120
	ds_write2_b32 v128, v105, v90 offset1:120
	ds_write2_b32 v129, v106, v103 offset1:120
	ds_write2_b32 v130, v107, v104 offset1:120
	v_lshlrev_b64 v[33:34], 3, v[0:1]
	v_add_u32_e32 v1, 0xffffff90, v0
	v_add_co_u32_e64 v33, s[0:1], s12, v33
	v_addc_co_u32_e64 v34, s[0:1], v61, v34, s[0:1]
	v_cmp_gt_u32_e64 s[0:1], s4, v19
	v_cndmask_b32_e64 v31, v1, v19, s[0:1]
	v_lshlrev_b64 v[90:91], 3, v[31:32]
	s_waitcnt lgkmcnt(0)
	v_add_co_u32_e64 v90, s[0:1], s12, v90
	v_addc_co_u32_e64 v91, s[0:1], v61, v91, s[0:1]
	s_barrier
	global_load_dwordx2 v[92:93], v[33:34], off offset:1968
	v_lshrrev_b32_e32 v120, 23, v38
	global_load_dwordx2 v[90:91], v[90:91], off offset:1840
	v_mul_lo_u16_e32 v1, 0xf0, v120
	v_lshrrev_b32_e32 v38, 23, v39
	v_lshrrev_b32_e32 v123, 23, v40
	v_sub_u16_e32 v121, v29, v1
	v_mul_lo_u16_e32 v38, 0xf0, v38
	v_mul_lo_u16_e32 v40, 0xf0, v123
	v_lshlrev_b32_e32 v1, 3, v121
	v_sub_u16_e32 v122, v25, v38
	v_sub_u16_e32 v124, v27, v40
	v_lshlrev_b32_e32 v98, 3, v122
	global_load_dwordx2 v[38:39], v1, s[12:13] offset:1840
	v_lshlrev_b32_e32 v1, 3, v124
	global_load_dwordx2 v[94:95], v98, s[12:13] offset:1840
	global_load_dwordx2 v[96:97], v1, s[12:13] offset:1840
	v_lshrrev_b32_e32 v1, 23, v37
	v_lshrrev_b32_e32 v126, 23, v15
	v_mul_lo_u16_e32 v1, 0xf0, v1
	v_mul_lo_u16_e32 v37, 0xf0, v126
	v_sub_u16_e32 v125, v23, v1
	v_sub_u16_e32 v127, v8, v37
	v_lshlrev_b32_e32 v1, 3, v125
	v_lshlrev_b32_e32 v37, 3, v127
	v_lshrrev_b32_e32 v40, 23, v44
	global_load_dwordx2 v[98:99], v1, s[12:13] offset:1840
	global_load_dwordx2 v[100:101], v37, s[12:13] offset:1840
	v_mul_lo_u16_e32 v1, 0xf0, v40
	v_lshrrev_b32_e32 v129, 23, v46
	v_sub_u16_e32 v128, v13, v1
	v_mul_lo_u16_e32 v37, 0xf0, v129
	v_lshlrev_b32_e32 v1, 3, v128
	v_sub_u16_e32 v130, v6, v37
	global_load_dwordx2 v[102:103], v1, s[12:13] offset:1840
	v_lshlrev_b32_e32 v1, 3, v130
	global_load_dwordx2 v[104:105], v1, s[12:13] offset:1840
	v_lshrrev_b32_e32 v1, 23, v41
	v_mul_lo_u16_e32 v1, 0xf0, v1
	v_lshrrev_b32_e32 v132, 23, v18
	v_sub_u16_e32 v131, v11, v1
	v_mul_lo_u16_e32 v37, 0xf0, v132
	v_lshlrev_b32_e32 v1, 3, v131
	v_sub_u16_e32 v133, v16, v37
	global_load_dwordx2 v[106:107], v1, s[12:13] offset:1840
	v_lshlrev_b32_e32 v1, 3, v133
	v_lshrrev_b32_e32 v37, 23, v45
	global_load_dwordx2 v[108:109], v1, s[12:13] offset:1840
	v_mul_lo_u16_e32 v1, 0xf0, v37
	v_sub_u16_e32 v134, v9, v1
	v_lshlrev_b32_e32 v1, 3, v134
	v_lshrrev_b32_e32 v135, 23, v43
	global_load_dwordx2 v[110:111], v1, s[12:13] offset:1840
	v_mul_lo_u16_e32 v1, 0xf0, v135
	v_sub_u16_e32 v136, v14, v1
	v_lshlrev_b32_e32 v1, 3, v136
	global_load_dwordx2 v[112:113], v1, s[12:13] offset:1840
	v_lshrrev_b32_e32 v1, 23, v42
	v_mul_lo_u16_e32 v1, 0xf0, v1
	v_sub_u16_e32 v137, v17, v1
	v_lshlrev_b32_e32 v1, 3, v137
	global_load_dwordx2 v[114:115], v1, s[12:13] offset:1840
	global_load_dwordx2 v[116:117], v[33:34], off offset:1840
	ds_read2st64_b32 v[118:119], v53 offset0:32 offset1:34
	s_movk_i32 s0, 0xef
	v_cmp_lt_u32_e64 s[0:1], s0, v19
	v_lshlrev_b32_e32 v31, 2, v31
	s_movk_i32 s4, 0x1e0
	v_mul_lo_u16_sdwa v41, v41, s4 dst_sel:DWORD dst_unused:UNUSED_PAD src0_sel:BYTE_3 src1_sel:DWORD
	v_lshlrev_b64 v[25:26], 3, v[25:26]
	v_lshlrev_b64 v[27:28], 3, v[27:28]
	;; [unrolled: 1-line block ×3, first 2 shown]
	s_waitcnt vmcnt(14) lgkmcnt(0)
	v_mul_f32_e32 v37, v119, v93
	v_mul_f32_e32 v93, v77, v93
	s_waitcnt vmcnt(13)
	v_mul_f32_e32 v1, v118, v91
	v_mul_f32_e32 v138, v76, v91
	v_fma_f32 v1, v76, v90, -v1
	v_fmac_f32_e32 v138, v118, v90
	ds_read2st64_b32 v[90:91], v53 offset0:36 offset1:38
	v_fma_f32 v118, v77, v92, -v37
	ds_read2st64_b32 v[76:77], v53 offset0:40 offset1:42
	v_fmac_f32_e32 v93, v119, v92
	v_sub_f32_e32 v1, v75, v1
	s_waitcnt vmcnt(12) lgkmcnt(1)
	v_mul_f32_e32 v37, v90, v39
	v_mul_f32_e32 v119, v78, v39
	v_fma_f32 v92, v78, v38, -v37
	v_fmac_f32_e32 v119, v90, v38
	ds_read2st64_b32 v[37:38], v53 offset0:44 offset1:46
	s_waitcnt vmcnt(11)
	v_mul_f32_e32 v39, v91, v95
	v_fma_f32 v78, v79, v94, -v39
	ds_read2st64_b32 v[39:40], v53 offset0:48 offset1:50
	v_mul_f32_e32 v95, v79, v95
	v_fmac_f32_e32 v95, v91, v94
	s_waitcnt vmcnt(10) lgkmcnt(2)
	v_mul_f32_e32 v79, v76, v97
	v_mul_f32_e32 v94, v80, v97
	v_fma_f32 v79, v80, v96, -v79
	v_fmac_f32_e32 v94, v76, v96
	s_waitcnt vmcnt(9)
	v_mul_f32_e32 v96, v81, v99
	s_waitcnt vmcnt(8)
	v_mul_f32_e32 v97, v82, v101
	v_mul_f32_e32 v76, v77, v99
	v_fmac_f32_e32 v96, v77, v98
	s_waitcnt lgkmcnt(1)
	v_mul_f32_e32 v77, v37, v101
	v_fmac_f32_e32 v97, v37, v100
	s_waitcnt vmcnt(7)
	v_mul_f32_e32 v37, v38, v103
	v_fma_f32 v76, v81, v98, -v76
	v_fma_f32 v80, v83, v102, -v37
	v_mul_f32_e32 v98, v83, v103
	s_waitcnt vmcnt(6) lgkmcnt(0)
	v_mul_f32_e32 v37, v39, v105
	v_fmac_f32_e32 v98, v38, v102
	v_fma_f32 v81, v84, v104, -v37
	ds_read2st64_b32 v[37:38], v53 offset0:52 offset1:54
	v_mul_f32_e32 v99, v84, v105
	v_fmac_f32_e32 v99, v39, v104
	s_waitcnt vmcnt(5)
	v_mul_f32_e32 v39, v40, v107
	v_fma_f32 v77, v82, v100, -v77
	v_fma_f32 v82, v85, v106, -v39
	v_mul_f32_e32 v100, v85, v107
	s_waitcnt vmcnt(4) lgkmcnt(0)
	v_mul_f32_e32 v39, v37, v109
	v_fmac_f32_e32 v100, v40, v106
	v_fma_f32 v83, v86, v108, -v39
	ds_read2st64_b32 v[39:40], v53 offset0:56 offset1:58
	v_mul_f32_e32 v101, v86, v109
	v_fmac_f32_e32 v101, v37, v108
	s_waitcnt vmcnt(3)
	v_mul_f32_e32 v37, v38, v111
	v_fma_f32 v84, v87, v110, -v37
	v_mul_f32_e32 v102, v87, v111
	s_waitcnt vmcnt(2) lgkmcnt(0)
	v_mul_f32_e32 v37, v39, v113
	v_fmac_f32_e32 v102, v38, v110
	v_fma_f32 v85, v88, v112, -v37
	ds_read2st64_b32 v[37:38], v53 offset1:30
	v_mul_f32_e32 v103, v88, v113
	s_waitcnt vmcnt(1)
	v_mul_f32_e32 v104, v89, v115
	v_fmac_f32_e32 v103, v39, v112
	v_mul_f32_e32 v39, v40, v115
	v_fmac_f32_e32 v104, v40, v114
	s_waitcnt vmcnt(0) lgkmcnt(0)
	v_mul_f32_e32 v40, v38, v117
	v_fma_f32 v40, v36, v116, -v40
	v_mul_f32_e32 v36, v36, v117
	v_fmac_f32_e32 v36, v38, v116
	v_sub_f32_e32 v38, v35, v40
	v_fma_f32 v35, v35, 2.0, -v38
	v_fma_f32 v39, v89, v114, -v39
	ds_read_b32 v40, v7
	ds_read_b32 v105, v10
	;; [unrolled: 1-line block ×14, first 2 shown]
	s_waitcnt lgkmcnt(0)
	s_barrier
	ds_write2_b32 v53, v35, v38 offset1:240
	v_mov_b32_e32 v35, 0x780
	v_cndmask_b32_e64 v35, 0, v35, s[0:1]
	v_add3_u32 v31, 0, v35, v31
	v_fma_f32 v35, v75, 2.0, -v1
	ds_write2_b32 v31, v35, v1 offset1:240
	v_sub_f32_e32 v35, v74, v118
	v_lshl_add_u32 v1, v0, 2, 0
	v_fma_f32 v38, v74, 2.0, -v35
	v_add_u32_e32 v118, 0x7c0, v1
	ds_write2_b32 v118, v38, v35 offset1:240
	v_mul_u32_u24_e32 v35, 0x780, v120
	v_lshlrev_b32_e32 v38, 2, v121
	v_add3_u32 v35, 0, v35, v38
	v_sub_f32_e32 v38, v73, v92
	v_fma_f32 v73, v73, 2.0, -v38
	ds_write2_b32 v35, v73, v38 offset1:240
	v_sub_f32_e32 v38, v72, v78
	v_lshl_add_u32 v73, v122, 2, 0
	v_fma_f32 v72, v72, 2.0, -v38
	v_add_u32_e32 v92, 0xf00, v73
	ds_write2_b32 v92, v72, v38 offset1:240
	v_mul_u32_u24_e32 v38, 0x780, v123
	v_lshlrev_b32_e32 v72, 2, v124
	v_add3_u32 v38, 0, v38, v72
	v_sub_f32_e32 v72, v70, v79
	;; [unrolled: 11-line block ×3, first 2 shown]
	v_fma_f32 v64, v64, 2.0, -v70
	v_sub_f32_e32 v71, v65, v80
	ds_write2_b32 v121, v64, v70 offset1:240
	v_lshl_add_u32 v64, v128, 2, 0
	v_fma_f32 v65, v65, 2.0, -v71
	v_add_u32_e32 v122, 0x1e00, v64
	v_sub_f32_e32 v72, v62, v81
	ds_write2_b32 v122, v65, v71 offset1:240
	v_mul_u32_u24_e32 v64, 0x780, v129
	v_lshlrev_b32_e32 v65, 2, v130
	v_fma_f32 v62, v62, 2.0, -v72
	v_add3_u32 v123, 0, v64, v65
	ds_write2_b32 v123, v62, v72 offset1:240
	v_lshl_add_u32 v62, v131, 2, 0
	v_add_u32_e32 v124, 0x2580, v62
	v_mul_u32_u24_e32 v62, 0x780, v132
	v_lshlrev_b32_e32 v64, 2, v133
	v_add3_u32 v125, 0, v62, v64
	v_lshl_add_u32 v62, v134, 2, 0
	v_add_u32_e32 v126, 0x2d00, v62
	v_mul_u32_u24_e32 v62, 0x780, v135
	v_lshlrev_b32_e32 v64, 2, v136
	v_sub_f32_e32 v36, v37, v36
	v_sub_f32_e32 v73, v68, v82
	;; [unrolled: 1-line block ×6, first 2 shown]
	v_add3_u32 v127, 0, v62, v64
	v_lshl_add_u32 v62, v137, 2, 0
	v_fma_f32 v37, v37, 2.0, -v36
	v_fma_f32 v68, v68, 2.0, -v73
	;; [unrolled: 1-line block ×6, first 2 shown]
	v_add_u32_e32 v128, 0x3480, v62
	ds_write2_b32 v124, v68, v73 offset1:240
	ds_write2_b32 v125, v66, v74 offset1:240
	;; [unrolled: 1-line block ×5, first 2 shown]
	s_waitcnt lgkmcnt(0)
	s_barrier
	ds_read2st64_b32 v[76:77], v53 offset1:30
	ds_read2st64_b32 v[78:79], v53 offset0:32 offset1:34
	ds_read2st64_b32 v[80:81], v53 offset0:36 offset1:38
	ds_read_b32 v64, v54
	ds_read_b32 v69, v47
	;; [unrolled: 1-line block ×14, first 2 shown]
	ds_read2st64_b32 v[82:83], v53 offset0:40 offset1:42
	ds_read2st64_b32 v[84:85], v53 offset0:44 offset1:46
	;; [unrolled: 1-line block ×5, first 2 shown]
	s_waitcnt lgkmcnt(0)
	s_barrier
	ds_write2_b32 v53, v37, v36 offset1:240
	v_sub_f32_e32 v36, v40, v138
	v_fma_f32 v37, v40, 2.0, -v36
	ds_write2_b32 v31, v37, v36 offset1:240
	v_sub_f32_e32 v31, v105, v93
	v_fma_f32 v36, v105, 2.0, -v31
	;; [unrolled: 3-line block ×4, first 2 shown]
	v_sub_f32_e32 v36, v106, v94
	v_sub_f32_e32 v39, v107, v96
	;; [unrolled: 1-line block ×10, first 2 shown]
	v_fma_f32 v37, v106, 2.0, -v36
	v_fma_f32 v40, v107, 2.0, -v39
	;; [unrolled: 1-line block ×10, first 2 shown]
	ds_write2_b32 v92, v35, v31 offset1:240
	ds_write2_b32 v38, v37, v36 offset1:240
	;; [unrolled: 1-line block ×11, first 2 shown]
	v_lshlrev_b64 v[35:36], 3, v[19:20]
	v_lshlrev_b64 v[37:38], 3, v[21:22]
	v_add_co_u32_e64 v35, s[0:1], s12, v35
	v_addc_co_u32_e64 v36, s[0:1], v61, v36, s[0:1]
	v_add_co_u32_e64 v37, s[0:1], s12, v37
	v_addc_co_u32_e64 v38, s[0:1], v61, v38, s[0:1]
	v_add_u32_e32 v20, 0xffffffa0, v0
	v_cmp_gt_u32_e64 s[0:1], s4, v29
	v_cndmask_b32_e64 v31, v20, v29, s[0:1]
	v_lshlrev_b64 v[39:40], 3, v[31:32]
	s_waitcnt lgkmcnt(0)
	s_barrier
	global_load_dwordx2 v[92:93], v[35:36], off offset:3760
	global_load_dwordx2 v[94:95], v[37:38], off offset:3760
	v_add_co_u32_e64 v39, s[0:1], s12, v39
	v_addc_co_u32_e64 v40, s[0:1], v61, v40, s[0:1]
	v_mul_lo_u16_sdwa v20, v15, s4 dst_sel:DWORD dst_unused:UNUSED_PAD src0_sel:BYTE_3 src1_sel:DWORD
	global_load_dwordx2 v[96:97], v[39:40], off offset:3760
	global_load_dwordx2 v[98:99], v[33:34], off offset:4016
	v_add_co_u32_e64 v39, s[0:1], s5, v33
	v_sub_u16_e32 v20, v8, v20
	v_sub_u16_e32 v122, v11, v41
	v_addc_co_u32_e64 v40, s[0:1], 0, v34, s[0:1]
	v_lshlrev_b32_e32 v22, 3, v20
	v_lshlrev_b32_e32 v41, 3, v122
	global_load_dwordx2 v[100:101], v[39:40], off offset:944
	global_load_dwordx2 v[102:103], v[39:40], off offset:1968
	global_load_dwordx2 v[104:105], v22, s[12:13] offset:3760
	global_load_dwordx2 v[110:111], v41, s[12:13] offset:3760
	v_mul_lo_u16_sdwa v22, v44, s4 dst_sel:DWORD dst_unused:UNUSED_PAD src0_sel:BYTE_3 src1_sel:DWORD
	v_mul_lo_u16_sdwa v41, v18, s4 dst_sel:DWORD dst_unused:UNUSED_PAD src0_sel:BYTE_3 src1_sel:DWORD
	v_sub_u16_e32 v22, v13, v22
	v_sub_u16_e32 v123, v16, v41
	v_lshlrev_b32_e32 v44, 3, v22
	v_lshlrev_b32_e32 v41, 3, v123
	global_load_dwordx2 v[106:107], v44, s[12:13] offset:3760
	global_load_dwordx2 v[112:113], v41, s[12:13] offset:3760
	v_mul_lo_u16_sdwa v44, v46, s4 dst_sel:DWORD dst_unused:UNUSED_PAD src0_sel:BYTE_3 src1_sel:DWORD
	v_sub_u16_e32 v46, v6, v44
	v_lshlrev_b32_e32 v44, 3, v46
	global_load_dwordx2 v[108:109], v44, s[12:13] offset:3760
	v_mul_lo_u16_sdwa v41, v45, s4 dst_sel:DWORD dst_unused:UNUSED_PAD src0_sel:BYTE_3 src1_sel:DWORD
	v_sub_u16_e32 v124, v9, v41
	v_lshlrev_b32_e32 v41, 3, v124
	global_load_dwordx2 v[44:45], v41, s[12:13] offset:3760
	global_load_dwordx2 v[114:115], v[33:34], off offset:3760
	v_mul_lo_u16_sdwa v41, v43, s4 dst_sel:DWORD dst_unused:UNUSED_PAD src0_sel:BYTE_3 src1_sel:DWORD
	v_sub_u16_e32 v125, v14, v41
	v_lshlrev_b32_e32 v41, 3, v125
	global_load_dwordx2 v[116:117], v41, s[12:13] offset:3760
	v_mul_lo_u16_sdwa v41, v42, s4 dst_sel:DWORD dst_unused:UNUSED_PAD src0_sel:BYTE_3 src1_sel:DWORD
	v_sub_u16_e32 v126, v17, v41
	v_lshlrev_b32_e32 v41, 3, v126
	global_load_dwordx2 v[41:42], v41, s[12:13] offset:3760
	ds_read2st64_b32 v[118:119], v53 offset0:32 offset1:34
	ds_read2st64_b32 v[120:121], v53 offset0:36 offset1:38
	s_movk_i32 s0, 0x1df
	v_cmp_lt_u32_e64 s[0:1], s0, v29
	v_lshlrev_b32_e32 v31, 2, v31
	s_movk_i32 s4, 0xf00
	v_mul_u32_u24_sdwa v15, v15, s4 dst_sel:DWORD dst_unused:UNUSED_PAD src0_sel:BYTE_3 src1_sel:DWORD
	v_lshlrev_b32_e32 v20, 2, v20
	v_lshlrev_b64 v[29:30], 3, v[29:30]
	s_waitcnt vmcnt(14) lgkmcnt(1)
	v_mul_f32_e32 v43, v118, v93
	v_fma_f32 v127, v78, v92, -v43
	v_mul_f32_e32 v128, v78, v93
	s_waitcnt vmcnt(13)
	v_mul_f32_e32 v43, v119, v95
	v_fmac_f32_e32 v128, v118, v92
	v_fma_f32 v118, v79, v94, -v43
	v_mul_f32_e32 v95, v79, v95
	ds_read2st64_b32 v[78:79], v53 offset0:40 offset1:42
	ds_read2st64_b32 v[92:93], v53 offset0:44 offset1:46
	s_waitcnt vmcnt(12) lgkmcnt(2)
	v_mul_f32_e32 v43, v120, v97
	v_fmac_f32_e32 v95, v119, v94
	v_fma_f32 v94, v80, v96, -v43
	v_mul_f32_e32 v97, v80, v97
	s_waitcnt vmcnt(11)
	v_mul_f32_e32 v43, v121, v99
	v_fmac_f32_e32 v97, v120, v96
	v_fma_f32 v96, v81, v98, -v43
	v_mul_f32_e32 v99, v81, v99
	ds_read2st64_b32 v[80:81], v53 offset0:48 offset1:50
	s_waitcnt vmcnt(10) lgkmcnt(2)
	v_mul_f32_e32 v43, v78, v101
	v_mul_f32_e32 v101, v82, v101
	v_fmac_f32_e32 v99, v121, v98
	v_fma_f32 v98, v82, v100, -v43
	v_fmac_f32_e32 v101, v78, v100
	s_waitcnt vmcnt(9)
	v_mul_f32_e32 v100, v83, v103
	v_mul_f32_e32 v43, v79, v103
	v_fmac_f32_e32 v100, v79, v102
	ds_read2st64_b32 v[78:79], v53 offset0:52 offset1:54
	v_fma_f32 v82, v83, v102, -v43
	s_waitcnt vmcnt(8) lgkmcnt(2)
	v_mul_f32_e32 v43, v92, v105
	v_fma_f32 v83, v84, v104, -v43
	s_waitcnt vmcnt(6)
	v_mul_f32_e32 v43, v93, v107
	v_mul_f32_e32 v102, v84, v105
	v_fma_f32 v84, v85, v106, -v43
	s_waitcnt vmcnt(4) lgkmcnt(1)
	v_mul_f32_e32 v43, v80, v109
	v_fmac_f32_e32 v102, v92, v104
	v_mul_f32_e32 v92, v85, v107
	v_fma_f32 v85, v86, v108, -v43
	v_mul_f32_e32 v43, v81, v111
	v_fmac_f32_e32 v92, v93, v106
	v_mul_f32_e32 v93, v86, v109
	v_fma_f32 v86, v87, v110, -v43
	s_waitcnt lgkmcnt(0)
	v_mul_f32_e32 v43, v78, v113
	v_mul_f32_e32 v103, v87, v111
	v_fma_f32 v87, v88, v112, -v43
	v_mul_f32_e32 v88, v88, v113
	s_waitcnt vmcnt(3)
	v_mul_f32_e32 v43, v79, v45
	v_fmac_f32_e32 v88, v78, v112
	v_fma_f32 v78, v89, v44, -v43
	v_mul_f32_e32 v89, v89, v45
	v_fmac_f32_e32 v89, v79, v44
	ds_read2st64_b32 v[43:44], v53 offset0:56 offset1:58
	v_fmac_f32_e32 v93, v80, v108
	v_fmac_f32_e32 v103, v81, v110
	ds_read2st64_b32 v[80:81], v53 offset1:30
	ds_read_b32 v104, v7
	ds_read_b32 v105, v10
	s_waitcnt vmcnt(1) lgkmcnt(3)
	v_mul_f32_e32 v79, v43, v117
	v_fma_f32 v79, v90, v116, -v79
	v_mul_f32_e32 v90, v90, v117
	s_waitcnt lgkmcnt(2)
	v_mul_f32_e32 v45, v81, v115
	v_fmac_f32_e32 v90, v43, v116
	s_waitcnt vmcnt(0)
	v_mul_f32_e32 v43, v44, v42
	v_fma_f32 v45, v77, v114, -v45
	v_fma_f32 v43, v91, v41, -v43
	v_mul_f32_e32 v91, v91, v42
	v_fmac_f32_e32 v91, v44, v41
	v_sub_f32_e32 v41, v76, v45
	v_mul_f32_e32 v77, v77, v115
	v_fma_f32 v42, v76, 2.0, -v41
	v_fmac_f32_e32 v77, v81, v114
	ds_read_b32 v106, v54
	ds_read_b32 v107, v47
	;; [unrolled: 1-line block ×12, first 2 shown]
	s_waitcnt lgkmcnt(0)
	s_barrier
	ds_write_b32 v53, v42
	ds_write_b32 v53, v41 offset:1920
	v_sub_f32_e32 v41, v75, v127
	v_fma_f32 v42, v75, 2.0, -v41
	ds_write_b32 v7, v42
	ds_write_b32 v7, v41 offset:1920
	v_sub_f32_e32 v41, v74, v118
	v_fma_f32 v42, v74, 2.0, -v41
	ds_write_b32 v10, v42
	ds_write_b32 v10, v41 offset:1920
	v_mov_b32_e32 v41, 0xf00
	v_cndmask_b32_e64 v41, 0, v41, s[0:1]
	v_sub_f32_e32 v44, v72, v96
	v_add3_u32 v31, 0, v41, v31
	v_sub_f32_e32 v41, v73, v94
	v_fma_f32 v45, v72, 2.0, -v44
	v_sub_f32_e32 v72, v64, v98
	v_fma_f32 v42, v73, 2.0, -v41
	v_fma_f32 v64, v64, 2.0, -v72
	v_sub_f32_e32 v73, v69, v82
	v_add_u32_e32 v94, 0x80, v1
	v_fma_f32 v69, v69, 2.0, -v73
	v_sub_f32_e32 v74, v65, v83
	ds_write_b32 v31, v42
	ds_write_b32 v31, v41 offset:1920
	ds_write2st64_b32 v94, v45, v64 offset0:15 offset1:17
	v_add_u32_e32 v64, 0x1380, v1
	v_fma_f32 v65, v65, 2.0, -v74
	v_sub_f32_e32 v75, v66, v84
	ds_write2_b32 v64, v69, v44 offset1:224
	ds_write2st64_b32 v1, v72, v73 offset0:25 offset1:27
	v_add3_u32 v69, 0, v15, v20
	v_sub_f32_e32 v111, v80, v77
	v_fma_f32 v66, v66, 2.0, -v75
	v_sub_f32_e32 v76, v62, v85
	ds_write_b32 v69, v65
	ds_write_b32 v69, v74 offset:1920
	v_lshl_add_u32 v65, v22, 2, 0
	v_fma_f32 v112, v80, 2.0, -v111
	v_fma_f32 v62, v62, 2.0, -v76
	v_sub_f32_e32 v77, v70, v86
	v_sub_f32_e32 v80, v67, v87
	ds_write_b32 v65, v66 offset:7680
	ds_write_b32 v65, v75 offset:9600
	v_lshl_add_u32 v66, v46, 2, 0
	v_mul_u32_u24_sdwa v15, v18, s4 dst_sel:DWORD dst_unused:UNUSED_PAD src0_sel:BYTE_3 src1_sel:DWORD
	v_lshlrev_b32_e32 v18, 2, v123
	v_fma_f32 v70, v70, 2.0, -v77
	v_fma_f32 v67, v67, 2.0, -v80
	v_sub_f32_e32 v78, v68, v78
	ds_write_b32 v66, v62 offset:7680
	ds_write_b32 v66, v76 offset:9600
	v_lshl_add_u32 v62, v122, 2, 0
	v_add3_u32 v96, 0, v15, v18
	v_fma_f32 v68, v68, 2.0, -v78
	v_sub_f32_e32 v79, v63, v79
	ds_write_b32 v62, v70 offset:7680
	ds_write_b32 v62, v77 offset:9600
	ds_write_b32 v96, v67
	ds_write_b32 v96, v80 offset:1920
	v_lshl_add_u32 v67, v124, 2, 0
	v_fma_f32 v63, v63, 2.0, -v79
	v_sub_f32_e32 v43, v71, v43
	ds_write_b32 v67, v68 offset:11520
	ds_write_b32 v67, v78 offset:13440
	v_lshl_add_u32 v68, v125, 2, 0
	v_sub_f32_e32 v98, v104, v128
	v_fma_f32 v71, v71, 2.0, -v43
	ds_write_b32 v68, v63 offset:11520
	ds_write_b32 v68, v79 offset:13440
	v_lshl_add_u32 v63, v126, 2, 0
	v_fma_f32 v104, v104, 2.0, -v98
	v_sub_f32_e32 v95, v105, v95
	ds_write_b32 v63, v71 offset:11520
	ds_write_b32 v63, v43 offset:13440
	s_waitcnt lgkmcnt(0)
	s_barrier
	ds_read2st64_b32 v[41:42], v53 offset1:30
	ds_read2st64_b32 v[74:75], v53 offset0:32 offset1:34
	ds_read2st64_b32 v[76:77], v53 offset0:36 offset1:38
	ds_read_b32 v46, v54
	ds_read2st64_b32 v[78:79], v53 offset0:40 offset1:42
	ds_read2st64_b32 v[80:81], v53 offset0:44 offset1:46
	ds_read_b32 v71, v47
	ds_read_b32 v70, v48
	;; [unrolled: 1-line block ×13, first 2 shown]
	ds_read2st64_b32 v[82:83], v53 offset0:48 offset1:50
	ds_read2st64_b32 v[84:85], v53 offset0:52 offset1:54
	;; [unrolled: 1-line block ×3, first 2 shown]
	s_waitcnt lgkmcnt(0)
	s_barrier
	ds_write_b32 v53, v112
	ds_write_b32 v53, v111 offset:1920
	ds_write_b32 v7, v104
	ds_write_b32 v7, v98 offset:1920
	v_fma_f32 v98, v105, 2.0, -v95
	ds_write_b32 v10, v98
	ds_write_b32 v10, v95 offset:1920
	v_sub_f32_e32 v95, v114, v97
	v_fma_f32 v97, v114, 2.0, -v95
	v_sub_f32_e32 v98, v113, v99
	v_sub_f32_e32 v101, v106, v101
	;; [unrolled: 1-line block ×11, first 2 shown]
	v_fma_f32 v99, v113, 2.0, -v98
	v_fma_f32 v104, v106, 2.0, -v101
	;; [unrolled: 1-line block ×11, first 2 shown]
	ds_write_b32 v31, v97
	ds_write_b32 v31, v95 offset:1920
	ds_write2st64_b32 v94, v99, v104 offset0:15 offset1:17
	ds_write2_b32 v64, v105, v98 offset1:224
	ds_write2st64_b32 v1, v101, v100 offset0:25 offset1:27
	ds_write_b32 v69, v106
	ds_write_b32 v69, v102 offset:1920
	ds_write_b32 v65, v107 offset:7680
	;; [unrolled: 1-line block ×7, first 2 shown]
	ds_write_b32 v96, v110
	ds_write_b32 v96, v88 offset:1920
	ds_write_b32 v67, v111 offset:11520
	;; [unrolled: 1-line block ×7, first 2 shown]
	v_add_co_u32_e64 v62, s[0:1], s5, v35
	v_addc_co_u32_e64 v63, s[0:1], 0, v36, s[0:1]
	v_add_co_u32_e64 v64, s[0:1], s5, v37
	v_addc_co_u32_e64 v65, s[0:1], 0, v38, s[0:1]
	s_waitcnt lgkmcnt(0)
	s_barrier
	ds_read2st64_b32 v[88:89], v53 offset0:32 offset1:34
	global_load_dwordx2 v[90:91], v[39:40], off offset:3504
	global_load_dwordx2 v[92:93], v[62:63], off offset:3504
	;; [unrolled: 1-line block ×3, first 2 shown]
	v_add_co_u32_e64 v62, s[0:1], s12, v29
	v_addc_co_u32_e64 v63, s[0:1], v61, v30, s[0:1]
	v_add_co_u32_e64 v29, s[0:1], s5, v62
	v_addc_co_u32_e64 v30, s[0:1], 0, v63, s[0:1]
	;; [unrolled: 2-line block ×7, first 2 shown]
	global_load_dwordx2 v[23:24], v[29:30], off offset:3504
	global_load_dwordx2 v[96:97], v[25:26], off offset:3504
	v_add_co_u32_e64 v25, s[0:1], s5, v68
	v_addc_co_u32_e64 v26, s[0:1], 0, v69, s[0:1]
	global_load_dwordx2 v[29:30], v[27:28], off offset:3504
	global_load_dwordx2 v[98:99], v[25:26], off offset:3504
	v_add_u32_e32 v25, 0xfffffc40, v8
	v_cmp_gt_u32_e64 s[0:1], s6, v8
	v_cndmask_b32_e64 v31, v25, v8, s[0:1]
	v_lshlrev_b64 v[25:26], 3, v[31:32]
	v_add_u32_e32 v106, 0x2c0, v0
	v_add_co_u32_e64 v25, s[0:1], s12, v25
	v_addc_co_u32_e64 v26, s[0:1], v61, v26, s[0:1]
	v_add_co_u32_e64 v25, s[0:1], s5, v25
	v_addc_co_u32_e64 v26, s[0:1], 0, v26, s[0:1]
	global_load_dwordx2 v[27:28], v[25:26], off offset:3504
	global_load_dwordx2 v[100:101], v[39:40], off offset:4016
	s_movk_i32 s0, 0x2000
	v_add_co_u32_e64 v25, s[0:1], s0, v33
	v_addc_co_u32_e64 v26, s[0:1], 0, v34, s[0:1]
	global_load_dwordx2 v[39:40], v[25:26], off offset:944
	global_load_dwordx2 v[102:103], v[25:26], off offset:1968
	;; [unrolled: 1-line block ×3, first 2 shown]
	v_add_u32_e32 v25, 0x240, v0
	v_mov_b32_e32 v26, v32
	v_lshlrev_b64 v[25:26], 3, v[25:26]
	v_mov_b32_e32 v107, v32
	v_add_co_u32_e64 v25, s[0:1], s12, v25
	v_addc_co_u32_e64 v26, s[0:1], v61, v26, s[0:1]
	v_add_co_u32_e64 v25, s[0:1], s5, v25
	v_lshlrev_b64 v[106:107], 3, v[106:107]
	v_addc_co_u32_e64 v26, s[0:1], 0, v26, s[0:1]
	global_load_dwordx2 v[25:26], v[25:26], off offset:3504
	v_add_co_u32_e64 v106, s[0:1], s12, v106
	v_addc_co_u32_e64 v107, s[0:1], v61, v107, s[0:1]
	v_add_u32_e32 v108, 0x340, v0
	v_mov_b32_e32 v109, v32
	v_add_co_u32_e64 v106, s[0:1], s5, v106
	v_lshlrev_b64 v[108:109], 3, v[108:109]
	v_addc_co_u32_e64 v107, s[0:1], 0, v107, s[0:1]
	global_load_dwordx2 v[106:107], v[106:107], off offset:3504
	v_add_co_u32_e64 v108, s[0:1], s12, v108
	v_addc_co_u32_e64 v61, s[0:1], v61, v109, s[0:1]
	v_add_co_u32_e64 v108, s[0:1], s5, v108
	v_addc_co_u32_e64 v109, s[0:1], 0, v61, s[0:1]
	global_load_dwordx2 v[108:109], v[108:109], off offset:3504
	s_waitcnt vmcnt(13) lgkmcnt(0)
	v_mul_f32_e32 v61, v88, v93
	v_mul_f32_e32 v112, v74, v93
	v_fma_f32 v61, v74, v92, -v61
	v_fmac_f32_e32 v112, v88, v92
	ds_read2st64_b32 v[92:93], v53 offset0:36 offset1:38
	s_waitcnt vmcnt(12)
	v_mul_f32_e32 v74, v89, v95
	v_mul_f32_e32 v95, v75, v95
	v_fmac_f32_e32 v95, v89, v94
	v_fma_f32 v88, v75, v94, -v74
	ds_read2st64_b32 v[74:75], v53 offset0:40 offset1:42
	ds_read2st64_b32 v[110:111], v53 offset1:30
	ds_read_b32 v113, v54
	s_movk_i32 s0, 0x3bf
	v_cmp_lt_u32_e64 s[0:1], s0, v8
	s_waitcnt vmcnt(11) lgkmcnt(3)
	v_mul_f32_e32 v89, v92, v24
	v_fma_f32 v89, v76, v23, -v89
	v_mul_f32_e32 v76, v76, v24
	v_fmac_f32_e32 v76, v92, v23
	s_waitcnt vmcnt(10)
	v_mul_f32_e32 v23, v93, v97
	v_fma_f32 v92, v77, v96, -v23
	ds_read2st64_b32 v[23:24], v53 offset0:44 offset1:46
	v_mul_f32_e32 v77, v77, v97
	v_fmac_f32_e32 v77, v93, v96
	s_waitcnt vmcnt(9) lgkmcnt(3)
	v_mul_f32_e32 v93, v74, v30
	v_mul_f32_e32 v30, v78, v30
	v_fma_f32 v93, v78, v29, -v93
	v_fmac_f32_e32 v30, v74, v29
	s_waitcnt vmcnt(8)
	v_mul_f32_e32 v29, v75, v99
	v_mul_f32_e32 v74, v79, v99
	v_fma_f32 v29, v79, v98, -v29
	v_fmac_f32_e32 v74, v75, v98
	ds_read_b32 v75, v47
	ds_read_b32 v78, v48
	;; [unrolled: 1-line block ×4, first 2 shown]
	v_sub_f32_e32 v29, v71, v29
	s_waitcnt vmcnt(7) lgkmcnt(4)
	v_mul_f32_e32 v96, v23, v28
	v_fma_f32 v96, v80, v27, -v96
	v_mul_f32_e32 v80, v80, v28
	v_fmac_f32_e32 v80, v23, v27
	ds_read2st64_b32 v[27:28], v53 offset0:48 offset1:50
	s_waitcnt vmcnt(6)
	v_mul_f32_e32 v23, v24, v101
	v_fma_f32 v97, v81, v100, -v23
	v_mul_f32_e32 v81, v81, v101
	v_fmac_f32_e32 v81, v24, v100
	s_waitcnt vmcnt(5) lgkmcnt(0)
	v_mul_f32_e32 v23, v27, v40
	ds_read_b32 v98, v56
	ds_read_b32 v99, v55
	;; [unrolled: 1-line block ×3, first 2 shown]
	v_fma_f32 v101, v82, v39, -v23
	ds_read2st64_b32 v[23:24], v53 offset0:52 offset1:54
	v_mul_f32_e32 v40, v82, v40
	v_fmac_f32_e32 v40, v27, v39
	s_waitcnt vmcnt(4)
	v_mul_f32_e32 v27, v28, v103
	v_fma_f32 v39, v83, v102, -v27
	s_waitcnt vmcnt(3) lgkmcnt(0)
	v_mul_f32_e32 v27, v23, v105
	v_mul_f32_e32 v82, v83, v103
	v_fma_f32 v103, v84, v104, -v27
	v_mul_f32_e32 v84, v84, v105
	v_fmac_f32_e32 v84, v23, v104
	s_waitcnt vmcnt(2)
	v_mul_f32_e32 v23, v24, v26
	v_fmac_f32_e32 v82, v28, v102
	ds_read_b32 v28, v12
	ds_read_b32 v83, v58
	;; [unrolled: 1-line block ×3, first 2 shown]
	v_fma_f32 v23, v85, v25, -v23
	v_mul_f32_e32 v85, v85, v26
	ds_read2st64_b32 v[26:27], v53 offset0:56 offset1:58
	v_mul_f32_e32 v105, v111, v91
	v_fmac_f32_e32 v85, v24, v25
	ds_read_b32 v24, v10
	ds_read_b32 v25, v7
	;; [unrolled: 1-line block ×3, first 2 shown]
	v_fma_f32 v105, v42, v90, -v105
	v_mul_f32_e32 v42, v42, v91
	v_fmac_f32_e32 v42, v111, v90
	s_waitcnt vmcnt(1) lgkmcnt(3)
	v_mul_f32_e32 v90, v26, v107
	v_fma_f32 v90, v86, v106, -v90
	v_mul_f32_e32 v86, v86, v107
	v_fmac_f32_e32 v86, v26, v106
	s_waitcnt lgkmcnt(1)
	v_sub_f32_e32 v106, v25, v112
	v_sub_f32_e32 v91, v110, v42
	v_fma_f32 v107, v25, 2.0, -v106
	v_sub_f32_e32 v25, v118, v88
	s_waitcnt vmcnt(0)
	v_mul_f32_e32 v26, v27, v109
	v_fma_f32 v26, v87, v108, -v26
	v_mul_f32_e32 v87, v87, v109
	v_fmac_f32_e32 v87, v27, v108
	v_sub_f32_e32 v27, v41, v105
	v_sub_f32_e32 v88, v24, v95
	v_fma_f32 v41, v41, 2.0, -v27
	v_fma_f32 v105, v110, 2.0, -v91
	v_sub_f32_e32 v42, v121, v61
	v_fma_f32 v108, v24, 2.0, -v88
	v_sub_f32_e32 v24, v73, v89
	v_sub_f32_e32 v89, v99, v76
	;; [unrolled: 1-line block ×6, first 2 shown]
	v_fma_f32 v61, v121, 2.0, -v42
	v_fma_f32 v95, v118, 2.0, -v25
	;; [unrolled: 1-line block ×4, first 2 shown]
	v_sub_f32_e32 v93, v113, v30
	v_fma_f32 v30, v46, 2.0, -v77
	v_fma_f32 v46, v71, 2.0, -v29
	;; [unrolled: 1-line block ×3, first 2 shown]
	v_sub_f32_e32 v75, v43, v101
	v_sub_f32_e32 v39, v44, v39
	s_waitcnt lgkmcnt(0)
	s_barrier
	ds_write2st64_b32 v53, v41, v27 offset1:15
	ds_write2st64_b32 v7, v61, v42 offset1:15
	;; [unrolled: 1-line block ×7, first 2 shown]
	v_mov_b32_e32 v24, 0x1e00
	v_sub_f32_e32 v71, v70, v96
	v_sub_f32_e32 v74, v45, v97
	;; [unrolled: 1-line block ×3, first 2 shown]
	v_fma_f32 v40, v43, 2.0, -v75
	v_fma_f32 v43, v44, 2.0, -v39
	v_sub_f32_e32 v44, v22, v103
	v_sub_f32_e32 v84, v28, v84
	v_cndmask_b32_e64 v24, 0, v24, s[0:1]
	v_lshlrev_b32_e32 v25, 2, v31
	v_sub_f32_e32 v96, v78, v80
	v_fma_f32 v70, v70, 2.0, -v71
	v_sub_f32_e32 v81, v79, v81
	v_fma_f32 v45, v45, 2.0, -v74
	v_fma_f32 v22, v22, 2.0, -v44
	;; [unrolled: 1-line block ×3, first 2 shown]
	v_sub_f32_e32 v23, v20, v23
	v_sub_f32_e32 v28, v15, v90
	;; [unrolled: 1-line block ×3, first 2 shown]
	v_add3_u32 v95, 0, v24, v25
	v_fma_f32 v112, v78, 2.0, -v96
	v_fma_f32 v97, v79, 2.0, -v81
	;; [unrolled: 1-line block ×5, first 2 shown]
	ds_write2st64_b32 v95, v70, v71 offset1:15
	ds_write2st64_b32 v1, v45, v40 offset0:31 offset1:33
	ds_write2st64_b32 v1, v75, v39 offset0:48 offset1:50
	;; [unrolled: 1-line block ×7, first 2 shown]
	s_waitcnt lgkmcnt(0)
	s_barrier
	ds_read2st64_b32 v[23:24], v53 offset1:30
	ds_read2st64_b32 v[25:26], v53 offset0:32 offset1:34
	ds_read2st64_b32 v[27:28], v53 offset0:36 offset1:38
	ds_read_b32 v71, v54
	ds_read2st64_b32 v[29:30], v53 offset0:40 offset1:42
	ds_read2st64_b32 v[39:40], v53 offset0:44 offset1:46
	ds_read_b32 v73, v47
	ds_read_b32 v74, v48
	;; [unrolled: 1-line block ×4, first 2 shown]
	ds_read2st64_b32 v[41:42], v53 offset0:48 offset1:50
	ds_read_b32 v72, v56
	ds_read_b32 v70, v55
	ds_read_b32 v77, v57
	ds_read2st64_b32 v[43:44], v53 offset0:52 offset1:54
	ds_read_b32 v78, v12
	ds_read_b32 v79, v58
	ds_read_b32 v22, v59
	;; [unrolled: 4-line block ×3, first 2 shown]
	v_sub_f32_e32 v82, v100, v82
	v_sub_f32_e32 v85, v83, v85
	;; [unrolled: 1-line block ×4, first 2 shown]
	v_fma_f32 v99, v99, 2.0, -v89
	v_fma_f32 v98, v98, 2.0, -v92
	;; [unrolled: 1-line block ×8, first 2 shown]
	s_waitcnt lgkmcnt(0)
	s_barrier
	ds_write2st64_b32 v53, v105, v91 offset1:15
	ds_write2st64_b32 v7, v107, v106 offset1:15
	;; [unrolled: 1-line block ×8, first 2 shown]
	ds_write2st64_b32 v1, v97, v94 offset0:31 offset1:33
	ds_write2st64_b32 v1, v101, v82 offset0:48 offset1:50
	;; [unrolled: 1-line block ×7, first 2 shown]
	s_waitcnt lgkmcnt(0)
	s_barrier
	s_and_saveexec_b64 s[0:1], vcc
	s_cbranch_execz .LBB0_15
; %bb.14:
	v_mov_b32_e32 v18, v32
	v_lshlrev_b64 v[17:18], 3, v[17:18]
	v_mov_b32_e32 v1, s13
	v_add_co_u32_e32 v7, vcc, s12, v17
	v_addc_co_u32_e32 v10, vcc, v1, v18, vcc
	v_mov_b32_e32 v15, v32
	v_add_co_u32_e32 v17, vcc, 0x3000, v7
	v_lshlrev_b64 v[14:15], 3, v[14:15]
	v_addc_co_u32_e32 v18, vcc, 0, v10, vcc
	v_add_co_u32_e32 v7, vcc, s12, v14
	s_movk_i32 s0, 0x3000
	v_addc_co_u32_e32 v10, vcc, v1, v15, vcc
	v_add_co_u32_e32 v14, vcc, s0, v7
	v_addc_co_u32_e32 v15, vcc, 0, v10, vcc
	v_mov_b32_e32 v10, v32
	v_lshlrev_b64 v[9:10], 3, v[9:10]
	global_load_dwordx2 v[81:82], v[17:18], off offset:2992
	global_load_dwordx2 v[83:84], v[14:15], off offset:2992
	v_add_co_u32_e32 v7, vcc, s12, v9
	v_addc_co_u32_e32 v10, vcc, v1, v10, vcc
	v_add_co_u32_e32 v9, vcc, s0, v7
	v_addc_co_u32_e32 v10, vcc, 0, v10, vcc
	global_load_dwordx2 v[85:86], v[9:10], off offset:2992
	v_mov_b32_e32 v17, v32
	v_lshlrev_b64 v[9:10], 3, v[16:17]
	v_mul_i32_i24_e32 v93, 0xffffffdc, v19
	v_add_co_u32_e32 v7, vcc, s12, v9
	v_addc_co_u32_e32 v10, vcc, v1, v10, vcc
	v_add_co_u32_e32 v9, vcc, s0, v7
	v_addc_co_u32_e32 v10, vcc, 0, v10, vcc
	global_load_dwordx2 v[87:88], v[9:10], off offset:2992
	v_mul_lo_u32 v7, s3, v4
	v_mul_lo_u32 v14, s2, v5
	v_mad_u64_u32 v[89:90], s[2:3], s2, v4, 0
	ds_read2st64_b32 v[4:5], v53 offset0:56 offset1:58
	ds_read2st64_b32 v[91:92], v53 offset0:52 offset1:54
	ds_read_b32 v17, v60
	ds_read_b32 v18, v59
	ds_read_b32 v19, v58
	ds_read_b32 v60, v12
	v_mov_b32_e32 v12, v32
	v_lshlrev_b64 v[9:10], 3, v[11:12]
	v_add3_u32 v90, v90, v14, v7
	v_add_co_u32_e32 v9, vcc, s12, v9
	v_addc_co_u32_e32 v10, vcc, v1, v10, vcc
	v_add_co_u32_e32 v9, vcc, s0, v9
	v_addc_co_u32_e32 v10, vcc, 0, v10, vcc
	global_load_dwordx2 v[58:59], v[9:10], off offset:2992
	v_mov_b32_e32 v14, v32
	v_mul_i32_i24_e32 v94, 0xffffffdc, v21
	s_mov_b32 s1, 0x88888889
	s_waitcnt vmcnt(4) lgkmcnt(5)
	v_mul_f32_e32 v7, v81, v5
	s_waitcnt vmcnt(3)
	v_mul_f32_e32 v9, v83, v4
	v_mul_f32_e32 v4, v84, v4
	;; [unrolled: 1-line block ×3, first 2 shown]
	v_fmac_f32_e32 v7, v46, v82
	v_fma_f32 v12, v45, v83, -v4
	v_fma_f32 v11, v46, v81, -v5
	s_waitcnt lgkmcnt(3)
	v_sub_f32_e32 v5, v17, v7
	v_sub_f32_e32 v15, v22, v12
	;; [unrolled: 1-line block ×3, first 2 shown]
	s_waitcnt vmcnt(2)
	v_mul_f32_e32 v10, v85, v92
	v_fmac_f32_e32 v10, v44, v86
	s_waitcnt lgkmcnt(1)
	v_sub_f32_e32 v20, v19, v10
	v_mul_f32_e32 v7, v86, v92
	v_fma_f32 v11, v17, 2.0, -v5
	v_fma_f32 v17, v22, 2.0, -v15
	;; [unrolled: 1-line block ×3, first 2 shown]
	v_fma_f32 v19, v44, v85, -v7
	v_mov_b32_e32 v7, v32
	v_lshlrev_b64 v[6:7], 3, v[6:7]
	v_fmac_f32_e32 v9, v45, v84
	v_add_co_u32_e32 v6, vcc, s12, v6
	v_addc_co_u32_e32 v7, vcc, v1, v7, vcc
	v_add_co_u32_e32 v6, vcc, s0, v6
	v_addc_co_u32_e32 v7, vcc, 0, v7, vcc
	global_load_dwordx2 v[44:45], v[6:7], off offset:2992
	v_lshlrev_b64 v[6:7], 3, v[13:14]
	v_sub_f32_e32 v16, v18, v9
	v_add_co_u32_e32 v6, vcc, s12, v6
	v_addc_co_u32_e32 v7, vcc, v1, v7, vcc
	v_add_co_u32_e32 v6, vcc, s0, v6
	v_addc_co_u32_e32 v7, vcc, 0, v7, vcc
	v_mov_b32_e32 v9, v32
	global_load_dwordx2 v[12:13], v[6:7], off offset:2992
	v_lshlrev_b64 v[6:7], 3, v[8:9]
	v_fma_f32 v10, v80, 2.0, -v4
	v_add_co_u32_e32 v6, vcc, s12, v6
	v_addc_co_u32_e32 v1, vcc, v1, v7, vcc
	v_add_co_u32_e32 v6, vcc, s0, v6
	v_addc_co_u32_e32 v7, vcc, 0, v1, vcc
	global_load_dwordx2 v[80:81], v[6:7], off offset:2992
	v_add_co_u32_e32 v6, vcc, s0, v68
	v_addc_co_u32_e32 v7, vcc, 0, v69, vcc
	global_load_dwordx2 v[68:69], v[6:7], off offset:2992
	;; [unrolled: 3-line block ×4, first 2 shown]
	v_add_co_u32_e32 v62, vcc, s0, v62
	s_waitcnt vmcnt(7)
	v_mul_f32_e32 v1, v87, v91
	v_addc_co_u32_e32 v63, vcc, 0, v63, vcc
	global_load_dwordx2 v[62:63], v[62:63], off offset:2992
	v_fmac_f32_e32 v1, v43, v88
	s_waitcnt lgkmcnt(0)
	v_sub_f32_e32 v7, v60, v1
	v_mul_f32_e32 v1, v88, v91
	v_fma_f32 v1, v43, v87, -v1
	v_add_co_u32_e32 v37, vcc, s0, v37
	v_sub_f32_e32 v19, v79, v19
	v_sub_f32_e32 v6, v78, v1
	v_addc_co_u32_e32 v38, vcc, 0, v38, vcc
	v_fma_f32 v21, v79, 2.0, -v19
	v_fma_f32 v9, v60, 2.0, -v7
	;; [unrolled: 1-line block ×3, first 2 shown]
	ds_read2st64_b32 v[78:79], v53 offset0:48 offset1:50
	ds_read_b32 v1, v57
	ds_read_b32 v50, v50
	;; [unrolled: 1-line block ×7, first 2 shown]
	global_load_dwordx2 v[37:38], v[37:38], off offset:2992
	v_add_co_u32_e32 v35, vcc, s0, v35
	v_addc_co_u32_e32 v36, vcc, 0, v36, vcc
	global_load_dwordx2 v[35:36], v[35:36], off offset:2992
	v_add_co_u32_e32 v33, vcc, s0, v33
	v_addc_co_u32_e32 v34, vcc, 0, v34, vcc
	global_load_dwordx2 v[33:34], v[33:34], off offset:2992
	s_waitcnt vmcnt(10) lgkmcnt(7)
	v_mul_f32_e32 v14, v58, v79
	v_fmac_f32_e32 v14, v42, v59
	s_waitcnt lgkmcnt(6)
	v_sub_f32_e32 v43, v1, v14
	v_fma_f32 v47, v1, 2.0, -v43
	v_mul_f32_e32 v1, v59, v79
	v_fma_f32 v1, v42, v58, -v1
	ds_read2st64_b32 v[56:57], v53 offset0:44 offset1:46
	v_sub_f32_e32 v42, v77, v1
	s_waitcnt vmcnt(9)
	v_mul_f32_e32 v1, v44, v78
	v_fmac_f32_e32 v1, v41, v45
	s_waitcnt lgkmcnt(6)
	v_sub_f32_e32 v49, v50, v1
	v_mul_f32_e32 v1, v45, v78
	v_fma_f32 v1, v41, v44, -v1
	v_sub_f32_e32 v48, v76, v1
	ds_read2st64_b32 v[58:59], v53 offset0:40 offset1:42
	ds_read_b32 v86, v54
	v_fma_f32 v46, v77, 2.0, -v42
	v_fma_f32 v55, v50, 2.0, -v49
	;; [unrolled: 1-line block ×3, first 2 shown]
	s_waitcnt vmcnt(8) lgkmcnt(2)
	v_mul_f32_e32 v1, v12, v57
	v_fmac_f32_e32 v1, v40, v13
	v_sub_f32_e32 v14, v60, v1
	v_mul_f32_e32 v1, v13, v57
	v_fma_f32 v1, v40, v12, -v1
	v_sub_f32_e32 v13, v75, v1
	v_fma_f32 v41, v60, 2.0, -v14
	v_add_u32_e32 v12, v52, v94
	ds_read_b32 v12, v12
	v_fma_f32 v54, v76, 2.0, -v48
	v_fma_f32 v40, v75, 2.0, -v13
	s_waitcnt vmcnt(7)
	v_mul_f32_e32 v1, v80, v56
	v_fmac_f32_e32 v1, v39, v81
	v_sub_f32_e32 v45, v82, v1
	v_mul_f32_e32 v1, v81, v56
	v_fma_f32 v1, v39, v80, -v1
	v_sub_f32_e32 v44, v74, v1
	s_waitcnt vmcnt(6) lgkmcnt(2)
	v_mul_f32_e32 v1, v68, v59
	v_fmac_f32_e32 v1, v30, v69
	v_sub_f32_e32 v60, v83, v1
	v_mul_f32_e32 v1, v69, v59
	v_fma_f32 v1, v30, v68, -v1
	ds_read2st64_b32 v[75:76], v53 offset0:36 offset1:38
	v_sub_f32_e32 v59, v73, v1
	s_waitcnt vmcnt(5)
	v_mul_f32_e32 v1, v66, v58
	v_fmac_f32_e32 v1, v29, v67
	s_waitcnt lgkmcnt(2)
	v_sub_f32_e32 v30, v86, v1
	v_mul_f32_e32 v1, v67, v58
	v_fma_f32 v1, v29, v66, -v1
	v_sub_f32_e32 v29, v71, v1
	s_waitcnt vmcnt(4) lgkmcnt(0)
	v_mul_f32_e32 v1, v64, v76
	v_fmac_f32_e32 v1, v28, v65
	v_sub_f32_e32 v66, v84, v1
	v_mul_f32_e32 v1, v65, v76
	v_fma_f32 v1, v28, v64, -v1
	v_sub_f32_e32 v65, v72, v1
	v_fma_f32 v67, v71, 2.0, -v29
	v_fma_f32 v76, v72, 2.0, -v65
	ds_read2st64_b32 v[71:72], v53 offset0:32 offset1:34
	s_waitcnt vmcnt(3)
	v_mul_f32_e32 v1, v62, v75
	v_fmac_f32_e32 v1, v27, v63
	v_sub_f32_e32 v28, v85, v1
	v_mul_f32_e32 v1, v63, v75
	v_fma_f32 v1, v27, v62, -v1
	v_sub_f32_e32 v27, v70, v1
	v_fma_f32 v63, v70, 2.0, -v27
	v_fma_f32 v64, v85, 2.0, -v28
	;; [unrolled: 1-line block ×4, first 2 shown]
	s_waitcnt vmcnt(2) lgkmcnt(0)
	v_mul_f32_e32 v1, v37, v72
	v_fmac_f32_e32 v1, v26, v38
	v_sub_f32_e32 v39, v12, v1
	v_fma_f32 v52, v12, 2.0, -v39
	v_mul_f32_e32 v1, v38, v72
	v_add_u32_e32 v12, v51, v93
	v_fma_f32 v1, v26, v37, -v1
	ds_read_b32 v12, v12
	v_sub_f32_e32 v38, v61, v1
	v_fma_f32 v51, v61, 2.0, -v38
	ds_read2st64_b32 v[61:62], v53 offset1:30
	s_waitcnt vmcnt(1)
	v_mul_f32_e32 v1, v35, v71
	v_fmac_f32_e32 v1, v25, v36
	s_waitcnt lgkmcnt(1)
	v_sub_f32_e32 v26, v12, v1
	v_mul_f32_e32 v1, v36, v71
	v_fma_f32 v1, v25, v35, -v1
	v_sub_f32_e32 v25, v31, v1
	s_waitcnt vmcnt(0) lgkmcnt(0)
	v_mul_f32_e32 v1, v33, v62
	v_fma_f32 v37, v12, 2.0, -v26
	v_fmac_f32_e32 v1, v24, v34
	v_mul_hi_u32 v12, v0, s1
	v_sub_f32_e32 v35, v61, v1
	v_mul_f32_e32 v1, v34, v62
	v_fma_f32 v1, v24, v33, -v1
	v_sub_f32_e32 v34, v23, v1
	v_fma_f32 v69, v23, 2.0, -v34
	v_lshrrev_b32_e32 v1, 10, v12
	v_lshlrev_b64 v[23:24], 3, v[89:90]
	v_mul_u32_u24_e32 v1, 0x780, v1
	v_sub_u32_e32 v12, v0, v1
	v_mov_b32_e32 v1, s11
	v_add_co_u32_e32 v23, vcc, s10, v23
	v_addc_co_u32_e32 v24, vcc, v1, v24, vcc
	v_lshlrev_b64 v[1:2], 3, v[2:3]
	v_fma_f32 v70, v61, 2.0, -v35
	v_add_co_u32_e32 v3, vcc, v23, v1
	v_addc_co_u32_e32 v23, vcc, v24, v2, vcc
	v_lshlrev_b32_e32 v1, 3, v12
	v_add_u32_e32 v12, 0x80, v0
	v_add_co_u32_e32 v1, vcc, v3, v1
	v_mul_hi_u32 v24, v12, s1
	v_addc_co_u32_e32 v2, vcc, 0, v23, vcc
	global_store_dwordx2 v[1:2], v[69:70], off
	v_add_co_u32_e32 v1, vcc, s0, v1
	v_addc_co_u32_e32 v2, vcc, 0, v2, vcc
	global_store_dwordx2 v[1:2], v[34:35], off offset:3072
	v_lshrrev_b32_e32 v1, 10, v24
	v_mul_u32_u24_e32 v2, 0x780, v1
	v_sub_u32_e32 v2, v12, v2
	v_fma_f32 v36, v31, 2.0, -v25
	v_mad_u32_u24 v31, v1, s4, v2
	v_lshlrev_b64 v[1:2], 3, v[31:32]
	v_add_u32_e32 v31, 0x780, v31
	v_add_co_u32_e32 v1, vcc, v3, v1
	v_addc_co_u32_e32 v2, vcc, v23, v2, vcc
	v_add_u32_e32 v12, 0x100, v0
	global_store_dwordx2 v[1:2], v[36:37], off
	v_lshlrev_b64 v[1:2], 3, v[31:32]
	v_mul_hi_u32 v24, v12, s1
	v_add_co_u32_e32 v1, vcc, v3, v1
	v_addc_co_u32_e32 v2, vcc, v23, v2, vcc
	global_store_dwordx2 v[1:2], v[25:26], off
	v_lshrrev_b32_e32 v1, 10, v24
	v_mul_u32_u24_e32 v2, 0x780, v1
	v_sub_u32_e32 v2, v12, v2
	v_mad_u32_u24 v31, v1, s4, v2
	v_lshlrev_b64 v[1:2], 3, v[31:32]
	v_add_u32_e32 v31, 0x780, v31
	v_add_co_u32_e32 v1, vcc, v3, v1
	v_addc_co_u32_e32 v2, vcc, v23, v2, vcc
	v_add_u32_e32 v12, 0x180, v0
	global_store_dwordx2 v[1:2], v[51:52], off
	v_lshlrev_b64 v[1:2], 3, v[31:32]
	v_mul_hi_u32 v24, v12, s1
	v_add_co_u32_e32 v1, vcc, v3, v1
	v_addc_co_u32_e32 v2, vcc, v23, v2, vcc
	global_store_dwordx2 v[1:2], v[38:39], off
	v_lshrrev_b32_e32 v1, 10, v24
	v_mul_u32_u24_e32 v2, 0x780, v1
	v_sub_u32_e32 v2, v12, v2
	;; [unrolled: 15-line block ×5, first 2 shown]
	v_mad_u32_u24 v31, v1, s4, v2
	v_lshlrev_b64 v[1:2], 3, v[31:32]
	v_fma_f32 v56, v74, 2.0, -v44
	v_add_co_u32_e32 v1, vcc, v3, v1
	v_fma_f32 v74, v83, 2.0, -v60
	v_fma_f32 v73, v73, 2.0, -v59
	v_addc_co_u32_e32 v2, vcc, v23, v2, vcc
	v_add_u32_e32 v31, 0x780, v31
	v_add_u32_e32 v12, 0x380, v0
	global_store_dwordx2 v[1:2], v[73:74], off
	v_lshlrev_b64 v[1:2], 3, v[31:32]
	v_mul_hi_u32 v24, v12, s1
	v_add_co_u32_e32 v1, vcc, v3, v1
	v_addc_co_u32_e32 v2, vcc, v23, v2, vcc
	global_store_dwordx2 v[1:2], v[59:60], off
	v_lshrrev_b32_e32 v1, 10, v24
	v_mul_u32_u24_e32 v2, 0x780, v1
	v_sub_u32_e32 v2, v12, v2
	v_mad_u32_u24 v31, v1, s4, v2
	v_lshlrev_b64 v[1:2], 3, v[31:32]
	v_fma_f32 v57, v82, 2.0, -v45
	v_add_co_u32_e32 v1, vcc, v3, v1
	v_addc_co_u32_e32 v2, vcc, v23, v2, vcc
	v_add_u32_e32 v31, 0x780, v31
	v_add_u32_e32 v12, 0x400, v0
	global_store_dwordx2 v[1:2], v[56:57], off
	v_lshlrev_b64 v[1:2], 3, v[31:32]
	v_mul_hi_u32 v24, v12, s1
	v_add_co_u32_e32 v1, vcc, v3, v1
	v_addc_co_u32_e32 v2, vcc, v23, v2, vcc
	global_store_dwordx2 v[1:2], v[44:45], off
	v_lshrrev_b32_e32 v1, 10, v24
	v_mul_u32_u24_e32 v2, 0x780, v1
	v_sub_u32_e32 v2, v12, v2
	v_mad_u32_u24 v31, v1, s4, v2
	v_lshlrev_b64 v[1:2], 3, v[31:32]
	v_add_u32_e32 v31, 0x780, v31
	v_add_co_u32_e32 v1, vcc, v3, v1
	v_addc_co_u32_e32 v2, vcc, v23, v2, vcc
	v_add_u32_e32 v12, 0x480, v0
	global_store_dwordx2 v[1:2], v[40:41], off
	v_lshlrev_b64 v[1:2], 3, v[31:32]
	v_mul_hi_u32 v24, v12, s1
	v_add_co_u32_e32 v1, vcc, v3, v1
	v_addc_co_u32_e32 v2, vcc, v23, v2, vcc
	global_store_dwordx2 v[1:2], v[13:14], off
	v_lshrrev_b32_e32 v1, 10, v24
	v_mul_u32_u24_e32 v2, 0x780, v1
	v_sub_u32_e32 v2, v12, v2
	v_mad_u32_u24 v31, v1, s4, v2
	v_lshlrev_b64 v[1:2], 3, v[31:32]
	v_add_u32_e32 v31, 0x780, v31
	v_add_co_u32_e32 v1, vcc, v3, v1
	v_addc_co_u32_e32 v2, vcc, v23, v2, vcc
	;; [unrolled: 15-line block ×4, first 2 shown]
	global_store_dwordx2 v[1:2], v[8:9], off
	v_add_u32_e32 v8, 0x600, v0
	v_lshlrev_b64 v[1:2], 3, v[31:32]
	v_mul_hi_u32 v9, v8, s1
	v_add_co_u32_e32 v1, vcc, v3, v1
	v_addc_co_u32_e32 v2, vcc, v23, v2, vcc
	global_store_dwordx2 v[1:2], v[6:7], off
	v_lshrrev_b32_e32 v1, 10, v9
	v_mul_u32_u24_e32 v2, 0x780, v1
	v_sub_u32_e32 v2, v8, v2
	v_mad_u32_u24 v31, v1, s4, v2
	v_lshlrev_b64 v[1:2], 3, v[31:32]
	v_add_u32_e32 v31, 0x780, v31
	v_add_co_u32_e32 v1, vcc, v3, v1
	v_addc_co_u32_e32 v2, vcc, v23, v2, vcc
	v_add_u32_e32 v6, 0x680, v0
	global_store_dwordx2 v[1:2], v[21:22], off
	v_lshlrev_b64 v[1:2], 3, v[31:32]
	v_mul_hi_u32 v7, v6, s1
	v_add_co_u32_e32 v1, vcc, v3, v1
	v_addc_co_u32_e32 v2, vcc, v23, v2, vcc
	global_store_dwordx2 v[1:2], v[19:20], off
	v_lshrrev_b32_e32 v1, 10, v7
	v_mul_u32_u24_e32 v2, 0x780, v1
	v_sub_u32_e32 v2, v6, v2
	v_mad_u32_u24 v31, v1, s4, v2
	v_lshlrev_b64 v[1:2], 3, v[31:32]
	v_add_u32_e32 v31, 0x780, v31
	v_add_co_u32_e32 v1, vcc, v3, v1
	v_addc_co_u32_e32 v2, vcc, v23, v2, vcc
	v_add_u32_e32 v6, 0x700, v0
	global_store_dwordx2 v[1:2], v[17:18], off
	v_lshlrev_b64 v[1:2], 3, v[31:32]
	v_mul_hi_u32 v7, v6, s1
	v_add_co_u32_e32 v0, vcc, v3, v1
	v_addc_co_u32_e32 v1, vcc, v23, v2, vcc
	global_store_dwordx2 v[0:1], v[15:16], off
	v_lshrrev_b32_e32 v0, 10, v7
	v_mul_u32_u24_e32 v1, 0x780, v0
	v_sub_u32_e32 v1, v6, v1
	v_mad_u32_u24 v31, v0, s4, v1
	v_lshlrev_b64 v[0:1], 3, v[31:32]
	v_add_u32_e32 v31, 0x780, v31
	v_add_co_u32_e32 v0, vcc, v3, v0
	v_addc_co_u32_e32 v1, vcc, v23, v1, vcc
	global_store_dwordx2 v[0:1], v[10:11], off
	v_lshlrev_b64 v[0:1], 3, v[31:32]
	v_add_co_u32_e32 v0, vcc, v3, v0
	v_addc_co_u32_e32 v1, vcc, v23, v1, vcc
	global_store_dwordx2 v[0:1], v[4:5], off
.LBB0_15:
	s_endpgm
	.section	.rodata,"a",@progbits
	.p2align	6, 0x0
	.amdhsa_kernel fft_rtc_fwd_len3840_factors_10_6_2_2_2_2_2_2_wgs_128_tpt_128_halfLds_sp_op_CI_CI_unitstride_sbrr_dirReg
		.amdhsa_group_segment_fixed_size 0
		.amdhsa_private_segment_fixed_size 0
		.amdhsa_kernarg_size 104
		.amdhsa_user_sgpr_count 6
		.amdhsa_user_sgpr_private_segment_buffer 1
		.amdhsa_user_sgpr_dispatch_ptr 0
		.amdhsa_user_sgpr_queue_ptr 0
		.amdhsa_user_sgpr_kernarg_segment_ptr 1
		.amdhsa_user_sgpr_dispatch_id 0
		.amdhsa_user_sgpr_flat_scratch_init 0
		.amdhsa_user_sgpr_private_segment_size 0
		.amdhsa_uses_dynamic_stack 0
		.amdhsa_system_sgpr_private_segment_wavefront_offset 0
		.amdhsa_system_sgpr_workgroup_id_x 1
		.amdhsa_system_sgpr_workgroup_id_y 0
		.amdhsa_system_sgpr_workgroup_id_z 0
		.amdhsa_system_sgpr_workgroup_info 0
		.amdhsa_system_vgpr_workitem_id 0
		.amdhsa_next_free_vgpr 159
		.amdhsa_next_free_sgpr 28
		.amdhsa_reserve_vcc 1
		.amdhsa_reserve_flat_scratch 0
		.amdhsa_float_round_mode_32 0
		.amdhsa_float_round_mode_16_64 0
		.amdhsa_float_denorm_mode_32 3
		.amdhsa_float_denorm_mode_16_64 3
		.amdhsa_dx10_clamp 1
		.amdhsa_ieee_mode 1
		.amdhsa_fp16_overflow 0
		.amdhsa_exception_fp_ieee_invalid_op 0
		.amdhsa_exception_fp_denorm_src 0
		.amdhsa_exception_fp_ieee_div_zero 0
		.amdhsa_exception_fp_ieee_overflow 0
		.amdhsa_exception_fp_ieee_underflow 0
		.amdhsa_exception_fp_ieee_inexact 0
		.amdhsa_exception_int_div_zero 0
	.end_amdhsa_kernel
	.text
.Lfunc_end0:
	.size	fft_rtc_fwd_len3840_factors_10_6_2_2_2_2_2_2_wgs_128_tpt_128_halfLds_sp_op_CI_CI_unitstride_sbrr_dirReg, .Lfunc_end0-fft_rtc_fwd_len3840_factors_10_6_2_2_2_2_2_2_wgs_128_tpt_128_halfLds_sp_op_CI_CI_unitstride_sbrr_dirReg
                                        ; -- End function
	.section	.AMDGPU.csdata,"",@progbits
; Kernel info:
; codeLenInByte = 21616
; NumSgprs: 32
; NumVgprs: 159
; ScratchSize: 0
; MemoryBound: 0
; FloatMode: 240
; IeeeMode: 1
; LDSByteSize: 0 bytes/workgroup (compile time only)
; SGPRBlocks: 3
; VGPRBlocks: 39
; NumSGPRsForWavesPerEU: 32
; NumVGPRsForWavesPerEU: 159
; Occupancy: 1
; WaveLimiterHint : 1
; COMPUTE_PGM_RSRC2:SCRATCH_EN: 0
; COMPUTE_PGM_RSRC2:USER_SGPR: 6
; COMPUTE_PGM_RSRC2:TRAP_HANDLER: 0
; COMPUTE_PGM_RSRC2:TGID_X_EN: 1
; COMPUTE_PGM_RSRC2:TGID_Y_EN: 0
; COMPUTE_PGM_RSRC2:TGID_Z_EN: 0
; COMPUTE_PGM_RSRC2:TIDIG_COMP_CNT: 0
	.type	__hip_cuid_43a11ab76914c884,@object ; @__hip_cuid_43a11ab76914c884
	.section	.bss,"aw",@nobits
	.globl	__hip_cuid_43a11ab76914c884
__hip_cuid_43a11ab76914c884:
	.byte	0                               ; 0x0
	.size	__hip_cuid_43a11ab76914c884, 1

	.ident	"AMD clang version 19.0.0git (https://github.com/RadeonOpenCompute/llvm-project roc-6.4.0 25133 c7fe45cf4b819c5991fe208aaa96edf142730f1d)"
	.section	".note.GNU-stack","",@progbits
	.addrsig
	.addrsig_sym __hip_cuid_43a11ab76914c884
	.amdgpu_metadata
---
amdhsa.kernels:
  - .args:
      - .actual_access:  read_only
        .address_space:  global
        .offset:         0
        .size:           8
        .value_kind:     global_buffer
      - .offset:         8
        .size:           8
        .value_kind:     by_value
      - .actual_access:  read_only
        .address_space:  global
        .offset:         16
        .size:           8
        .value_kind:     global_buffer
      - .actual_access:  read_only
        .address_space:  global
        .offset:         24
        .size:           8
        .value_kind:     global_buffer
      - .actual_access:  read_only
        .address_space:  global
        .offset:         32
        .size:           8
        .value_kind:     global_buffer
      - .offset:         40
        .size:           8
        .value_kind:     by_value
      - .actual_access:  read_only
        .address_space:  global
        .offset:         48
        .size:           8
        .value_kind:     global_buffer
      - .actual_access:  read_only
        .address_space:  global
        .offset:         56
        .size:           8
        .value_kind:     global_buffer
      - .offset:         64
        .size:           4
        .value_kind:     by_value
      - .actual_access:  read_only
        .address_space:  global
        .offset:         72
        .size:           8
        .value_kind:     global_buffer
      - .actual_access:  read_only
        .address_space:  global
        .offset:         80
        .size:           8
        .value_kind:     global_buffer
      - .actual_access:  read_only
        .address_space:  global
        .offset:         88
        .size:           8
        .value_kind:     global_buffer
      - .actual_access:  write_only
        .address_space:  global
        .offset:         96
        .size:           8
        .value_kind:     global_buffer
    .group_segment_fixed_size: 0
    .kernarg_segment_align: 8
    .kernarg_segment_size: 104
    .language:       OpenCL C
    .language_version:
      - 2
      - 0
    .max_flat_workgroup_size: 128
    .name:           fft_rtc_fwd_len3840_factors_10_6_2_2_2_2_2_2_wgs_128_tpt_128_halfLds_sp_op_CI_CI_unitstride_sbrr_dirReg
    .private_segment_fixed_size: 0
    .sgpr_count:     32
    .sgpr_spill_count: 0
    .symbol:         fft_rtc_fwd_len3840_factors_10_6_2_2_2_2_2_2_wgs_128_tpt_128_halfLds_sp_op_CI_CI_unitstride_sbrr_dirReg.kd
    .uniform_work_group_size: 1
    .uses_dynamic_stack: false
    .vgpr_count:     159
    .vgpr_spill_count: 0
    .wavefront_size: 64
amdhsa.target:   amdgcn-amd-amdhsa--gfx906
amdhsa.version:
  - 1
  - 2
...

	.end_amdgpu_metadata
